;; amdgpu-corpus repo=ROCm/rocFFT kind=compiled arch=gfx1030 opt=O3
	.text
	.amdgcn_target "amdgcn-amd-amdhsa--gfx1030"
	.amdhsa_code_object_version 6
	.protected	bluestein_single_back_len510_dim1_sp_op_CI_CI ; -- Begin function bluestein_single_back_len510_dim1_sp_op_CI_CI
	.globl	bluestein_single_back_len510_dim1_sp_op_CI_CI
	.p2align	8
	.type	bluestein_single_back_len510_dim1_sp_op_CI_CI,@function
bluestein_single_back_len510_dim1_sp_op_CI_CI: ; @bluestein_single_back_len510_dim1_sp_op_CI_CI
; %bb.0:
	s_load_dwordx4 s[0:3], s[4:5], 0x28
	v_mul_u32_u24_e32 v1, 0x788, v0
	v_lshrrev_b32_e32 v1, 16, v1
	v_mad_u64_u32 v[76:77], null, s6, 7, v[1:2]
	v_mov_b32_e32 v77, 0
                                        ; kill: def $vgpr2 killed $sgpr0 killed $exec
	s_waitcnt lgkmcnt(0)
	v_cmp_gt_u64_e32 vcc_lo, s[0:1], v[76:77]
	s_and_saveexec_b32 s0, vcc_lo
	s_cbranch_execz .LBB0_23
; %bb.1:
	v_mul_hi_u32 v2, 0x24924925, v76
	v_mul_lo_u16 v1, v1, 34
	s_clause 0x1
	s_load_dwordx2 s[12:13], s[4:5], 0x0
	s_load_dwordx2 s[14:15], s[4:5], 0x38
	v_sub_nc_u16 v0, v0, v1
	v_sub_nc_u32_e32 v3, v76, v2
	v_and_b32_e32 v97, 0xffff, v0
	v_cmp_gt_u16_e32 vcc_lo, 30, v0
	v_lshrrev_b32_e32 v3, 1, v3
	v_lshlrev_b32_e32 v96, 3, v97
	v_or_b32_e32 v95, 0x1e0, v97
	v_add_nc_u32_e32 v2, v3, v2
	v_lshrrev_b32_e32 v2, 2, v2
	v_mul_lo_u32 v2, v2, 7
	v_sub_nc_u32_e32 v1, v76, v2
	v_mul_u32_u24_e32 v42, 0x1fe, v1
	v_lshlrev_b32_e32 v98, 3, v42
	s_and_saveexec_b32 s1, vcc_lo
	s_cbranch_execz .LBB0_3
; %bb.2:
	s_load_dwordx2 s[6:7], s[4:5], 0x18
	s_waitcnt lgkmcnt(0)
	v_add_co_u32 v20, s0, s12, v96
	v_add_co_ci_u32_e64 v21, null, s13, 0, s0
	v_lshlrev_b32_e32 v24, 3, v95
	v_add_co_u32 v20, s0, 0x800, v20
	v_add_co_ci_u32_e64 v21, s0, 0, v21, s0
	v_add_nc_u32_e32 v71, v98, v96
	v_lshl_add_u32 v72, v97, 3, v98
	v_add_nc_u32_e32 v73, 0x800, v71
	s_load_dwordx4 s[8:11], s[6:7], 0x0
	s_clause 0x9
	global_load_dwordx2 v[0:1], v96, s[12:13] offset:240
	global_load_dwordx2 v[2:3], v96, s[12:13] offset:480
	;; [unrolled: 1-line block ×8, first 2 shown]
	global_load_dwordx2 v[22:23], v96, s[12:13]
	global_load_dwordx2 v[24:25], v24, s[12:13]
	s_waitcnt lgkmcnt(0)
	v_mad_u64_u32 v[16:17], null, s10, v76, 0
	v_mad_u64_u32 v[18:19], null, s8, v97, 0
	;; [unrolled: 1-line block ×3, first 2 shown]
	s_mul_i32 s0, s9, 0xf0
	s_mul_hi_u32 s6, s8, 0xf0
	s_mul_i32 s7, s8, 0xf0
	s_add_i32 s6, s6, s0
	v_mad_u64_u32 v[28:29], null, s11, v76, v[17:18]
	v_mad_u64_u32 v[29:30], null, s9, v97, v[19:20]
	s_clause 0x4
	global_load_dwordx2 v[30:31], v[20:21], off offset:112
	global_load_dwordx2 v[32:33], v[20:21], off offset:352
	;; [unrolled: 1-line block ×5, first 2 shown]
	v_mov_b32_e32 v17, v28
	v_mad_u64_u32 v[27:28], null, s9, v95, v[27:28]
	v_mov_b32_e32 v19, v29
	v_lshlrev_b64 v[16:17], 3, v[16:17]
	v_lshlrev_b64 v[18:19], 3, v[18:19]
	v_add_co_u32 v28, s0, s2, v16
	v_add_co_ci_u32_e64 v29, s0, s3, v17, s0
	v_add_co_u32 v16, s0, v28, v18
	v_add_co_ci_u32_e64 v17, s0, v29, v19, s0
	v_lshlrev_b64 v[18:19], 3, v[26:27]
	v_add_co_u32 v26, s0, v16, s7
	v_add_co_ci_u32_e64 v27, s0, s6, v17, s0
	global_load_dwordx2 v[16:17], v[16:17], off
	v_add_co_u32 v18, s0, v28, v18
	v_add_co_ci_u32_e64 v19, s0, v29, v19, s0
	v_add_co_u32 v28, s0, v26, s7
	v_add_co_ci_u32_e64 v29, s0, s6, v27, s0
	global_load_dwordx2 v[18:19], v[18:19], off
	v_add_co_u32 v40, s0, v28, s7
	v_add_co_ci_u32_e64 v41, s0, s6, v29, s0
	v_add_co_u32 v43, s0, v40, s7
	v_add_co_ci_u32_e64 v44, s0, s6, v41, s0
	s_clause 0x2
	global_load_dwordx2 v[26:27], v[26:27], off
	global_load_dwordx2 v[28:29], v[28:29], off
	;; [unrolled: 1-line block ×3, first 2 shown]
	v_add_co_u32 v45, s0, v43, s7
	v_add_co_ci_u32_e64 v46, s0, s6, v44, s0
	global_load_dwordx2 v[43:44], v[43:44], off
	v_add_co_u32 v47, s0, v45, s7
	v_add_co_ci_u32_e64 v48, s0, s6, v46, s0
	global_load_dwordx2 v[45:46], v[45:46], off
	v_add_co_u32 v49, s0, v47, s7
	v_add_co_ci_u32_e64 v50, s0, s6, v48, s0
	global_load_dwordx2 v[47:48], v[47:48], off
	v_add_co_u32 v51, s0, v49, s7
	v_add_co_ci_u32_e64 v52, s0, s6, v50, s0
	global_load_dwordx2 v[49:50], v[49:50], off
	v_add_co_u32 v53, s0, v51, s7
	v_add_co_ci_u32_e64 v54, s0, s6, v52, s0
	global_load_dwordx2 v[51:52], v[51:52], off
	v_add_co_u32 v55, s0, v53, s7
	v_add_co_ci_u32_e64 v56, s0, s6, v54, s0
	global_load_dwordx2 v[53:54], v[53:54], off
	v_add_co_u32 v57, s0, v55, s7
	v_add_co_ci_u32_e64 v58, s0, s6, v56, s0
	global_load_dwordx2 v[55:56], v[55:56], off
	v_add_co_u32 v59, s0, v57, s7
	v_add_co_ci_u32_e64 v60, s0, s6, v58, s0
	global_load_dwordx2 v[57:58], v[57:58], off
	v_add_co_u32 v61, s0, v59, s7
	v_add_co_ci_u32_e64 v62, s0, s6, v60, s0
	global_load_dwordx2 v[59:60], v[59:60], off
	v_add_co_u32 v63, s0, v61, s7
	v_add_co_ci_u32_e64 v64, s0, s6, v62, s0
	global_load_dwordx2 v[61:62], v[61:62], off
	v_add_co_u32 v65, s0, v63, s7
	v_add_co_ci_u32_e64 v66, s0, s6, v64, s0
	global_load_dwordx2 v[63:64], v[63:64], off
	s_clause 0x1
	global_load_dwordx2 v[67:68], v[20:21], off offset:1312
	global_load_dwordx2 v[20:21], v[20:21], off offset:1552
	global_load_dwordx2 v[65:66], v[65:66], off
	s_waitcnt vmcnt(18)
	v_mul_f32_e32 v69, v17, v23
	v_mul_f32_e32 v70, v16, v23
	v_fmac_f32_e32 v69, v16, v22
	v_fma_f32 v70, v17, v22, -v70
	s_waitcnt vmcnt(17)
	v_mul_f32_e32 v23, v19, v25
	v_mul_f32_e32 v25, v18, v25
	ds_write_b64 v72, v[69:70]
	v_fmac_f32_e32 v23, v18, v24
	v_fma_f32 v24, v19, v24, -v25
	s_waitcnt vmcnt(16)
	v_mul_f32_e32 v16, v27, v1
	v_mul_f32_e32 v17, v26, v1
	s_waitcnt vmcnt(15)
	v_mul_f32_e32 v1, v29, v3
	s_waitcnt vmcnt(14)
	v_mul_f32_e32 v18, v40, v5
	v_fmac_f32_e32 v16, v26, v0
	v_fma_f32 v17, v27, v0, -v17
	v_mul_f32_e32 v0, v28, v3
	v_mul_f32_e32 v3, v41, v5
	s_waitcnt vmcnt(13)
	v_mul_f32_e32 v5, v44, v7
	v_mul_f32_e32 v7, v43, v7
	v_fmac_f32_e32 v1, v28, v2
	v_fma_f32 v2, v29, v2, -v0
	v_fmac_f32_e32 v3, v40, v4
	v_fma_f32 v4, v41, v4, -v18
	;; [unrolled: 2-line block ×3, first 2 shown]
	s_waitcnt vmcnt(12)
	v_mul_f32_e32 v7, v45, v9
	v_mul_f32_e32 v0, v46, v9
	ds_write2_b64 v71, v[16:17], v[1:2] offset0:30 offset1:60
	s_waitcnt vmcnt(11)
	v_mul_f32_e32 v2, v48, v11
	ds_write2_b64 v71, v[3:4], v[5:6] offset0:90 offset1:120
	v_mul_f32_e32 v3, v47, v11
	v_fma_f32 v1, v46, v8, -v7
	s_waitcnt vmcnt(10)
	v_mul_f32_e32 v4, v50, v13
	v_mul_f32_e32 v5, v49, v13
	v_fmac_f32_e32 v0, v45, v8
	s_waitcnt vmcnt(9)
	v_mul_f32_e32 v6, v52, v15
	v_mul_f32_e32 v7, v51, v15
	v_fmac_f32_e32 v2, v47, v10
	v_fma_f32 v3, v48, v10, -v3
	v_fmac_f32_e32 v4, v49, v12
	v_fma_f32 v5, v50, v12, -v5
	v_fmac_f32_e32 v6, v51, v14
	v_fma_f32 v7, v52, v14, -v7
	ds_write2_b64 v71, v[0:1], v[2:3] offset0:150 offset1:180
	s_waitcnt vmcnt(8)
	v_mul_f32_e32 v0, v54, v31
	v_mul_f32_e32 v1, v53, v31
	s_waitcnt vmcnt(7)
	v_mul_f32_e32 v2, v56, v33
	v_mul_f32_e32 v3, v55, v33
	ds_write2_b64 v71, v[4:5], v[6:7] offset0:210 offset1:240
	v_fmac_f32_e32 v0, v53, v30
	s_waitcnt vmcnt(6)
	v_mul_f32_e32 v4, v58, v35
	v_mul_f32_e32 v5, v57, v35
	v_fma_f32 v1, v54, v30, -v1
	v_fmac_f32_e32 v2, v55, v32
	v_fma_f32 v3, v56, v32, -v3
	s_waitcnt vmcnt(5)
	v_mul_f32_e32 v6, v60, v37
	v_mul_f32_e32 v7, v59, v37
	v_fmac_f32_e32 v4, v57, v34
	v_fma_f32 v5, v58, v34, -v5
	s_waitcnt vmcnt(4)
	v_mul_f32_e32 v8, v62, v39
	v_mul_f32_e32 v9, v61, v39
	v_fmac_f32_e32 v6, v59, v36
	s_waitcnt vmcnt(2)
	v_mul_f32_e32 v10, v64, v68
	v_mul_f32_e32 v11, v63, v68
	s_waitcnt vmcnt(0)
	v_mul_f32_e32 v12, v66, v21
	v_mul_f32_e32 v13, v65, v21
	v_fma_f32 v7, v60, v36, -v7
	v_fmac_f32_e32 v8, v61, v38
	v_fma_f32 v9, v62, v38, -v9
	v_fmac_f32_e32 v10, v63, v67
	v_fma_f32 v11, v64, v67, -v11
	v_fmac_f32_e32 v12, v65, v20
	v_fma_f32 v13, v66, v20, -v13
	ds_write2_b64 v73, v[0:1], v[2:3] offset0:14 offset1:44
	ds_write2_b64 v73, v[4:5], v[6:7] offset0:74 offset1:104
	;; [unrolled: 1-line block ×4, first 2 shown]
.LBB0_3:
	s_or_b32 exec_lo, exec_lo, s1
	v_mov_b32_e32 v8, 0
	v_mov_b32_e32 v9, 0
	s_waitcnt lgkmcnt(0)
	s_barrier
	buffer_gl0_inv
                                        ; implicit-def: $vgpr26
                                        ; implicit-def: $vgpr22
                                        ; implicit-def: $vgpr18
                                        ; implicit-def: $vgpr14
                                        ; implicit-def: $vgpr0
                                        ; implicit-def: $vgpr30
                                        ; implicit-def: $vgpr34
                                        ; implicit-def: $vgpr38
	s_and_saveexec_b32 s0, vcc_lo
	s_cbranch_execz .LBB0_5
; %bb.4:
	v_lshl_add_u32 v0, v42, 3, v96
	v_add_nc_u32_e32 v1, 0x400, v0
	v_add_nc_u32_e32 v2, 0x800, v0
	ds_read2_b64 v[8:11], v0 offset1:30
	ds_read2_b64 v[36:39], v0 offset0:60 offset1:90
	ds_read2_b64 v[32:35], v0 offset0:120 offset1:150
	;; [unrolled: 1-line block ×7, first 2 shown]
	ds_read_b64 v[0:1], v0 offset:3840
.LBB0_5:
	s_or_b32 exec_lo, exec_lo, s0
	s_waitcnt lgkmcnt(0)
	v_sub_f32_e32 v99, v10, v0
	v_sub_f32_e32 v89, v11, v1
	v_add_f32_e32 v41, v1, v11
	v_sub_f32_e32 v101, v36, v14
	v_add_f32_e32 v40, v0, v10
	v_mul_f32_e32 v58, 0xbeb8f4ab, v99
	v_mul_f32_e32 v57, 0xbeb8f4ab, v89
	;; [unrolled: 1-line block ×4, first 2 shown]
	v_sub_f32_e32 v100, v37, v15
	v_fma_f32 v3, 0x3f6eb680, v41, -v58
	v_add_f32_e32 v44, v15, v37
	v_mul_f32_e32 v60, 0xbf2c7751, v101
	v_mul_f32_e32 v65, 0xbf2c7751, v99
	v_fmamk_f32 v2, v40, 0x3f6eb680, v57
	v_fmamk_f32 v4, v40, 0x3f3d2fb0, v62
	v_add_f32_e32 v3, v3, v9
	v_fmamk_f32 v6, v40, 0x3ee437d1, v77
	v_mul_f32_e32 v82, 0xbf65296c, v99
	v_add_f32_e32 v43, v14, v36
	v_mul_f32_e32 v59, 0xbf2c7751, v100
	v_mul_f32_e32 v67, 0xbf7ee86f, v100
	v_fma_f32 v46, 0x3f3d2fb0, v44, -v60
	v_mul_f32_e32 v84, 0xbf4c4adb, v100
	v_fma_f32 v5, 0x3f3d2fb0, v41, -v65
	v_add_f32_e32 v2, v2, v8
	v_add_f32_e32 v4, v4, v8
	;; [unrolled: 1-line block ×3, first 2 shown]
	v_fma_f32 v7, 0x3ee437d1, v41, -v82
	v_mul_f32_e32 v70, 0xbf7ee86f, v101
	v_fmamk_f32 v45, v43, 0x3f3d2fb0, v59
	v_fmamk_f32 v47, v43, 0x3dbcf732, v67
	v_add_f32_e32 v3, v46, v3
	v_sub_f32_e32 v107, v39, v13
	v_mul_f32_e32 v90, 0xbf4c4adb, v101
	v_fmamk_f32 v46, v43, 0xbf1a4643, v84
	v_sub_f32_e32 v108, v38, v12
	v_add_f32_e32 v5, v5, v9
	v_add_f32_e32 v7, v7, v9
	v_fma_f32 v48, 0x3dbcf732, v44, -v70
	v_add_f32_e32 v2, v45, v2
	v_add_f32_e32 v4, v47, v4
	;; [unrolled: 1-line block ×3, first 2 shown]
	v_mul_f32_e32 v61, 0xbf65296c, v107
	v_fma_f32 v47, 0xbf1a4643, v44, -v90
	v_add_f32_e32 v6, v46, v6
	v_add_f32_e32 v46, v13, v39
	v_mul_f32_e32 v63, 0xbf65296c, v108
	v_add_f32_e32 v5, v48, v5
	v_fmamk_f32 v48, v45, 0x3ee437d1, v61
	v_add_f32_e32 v7, v47, v7
	v_mul_f32_e32 v71, 0xbf4c4adb, v107
	v_fma_f32 v47, 0x3ee437d1, v46, -v63
	v_mul_f32_e32 v88, 0x3e3c28d5, v107
	v_mul_f32_e32 v73, 0xbf4c4adb, v108
	v_add_f32_e32 v2, v48, v2
	v_fmamk_f32 v48, v45, 0xbf1a4643, v71
	v_add_f32_e32 v3, v47, v3
	v_mul_f32_e32 v93, 0x3e3c28d5, v108
	v_fmamk_f32 v47, v45, 0xbf7ba420, v88
	v_sub_f32_e32 v111, v33, v19
	v_fma_f32 v49, 0xbf1a4643, v46, -v73
	v_add_f32_e32 v4, v48, v4
	v_fma_f32 v48, 0xbf7ba420, v46, -v93
	v_add_f32_e32 v6, v47, v6
	v_sub_f32_e32 v112, v32, v18
	v_add_f32_e32 v47, v18, v32
	v_mul_f32_e32 v64, 0xbf7ee86f, v111
	v_add_f32_e32 v5, v49, v5
	v_add_f32_e32 v7, v48, v7
	;; [unrolled: 1-line block ×3, first 2 shown]
	v_mul_f32_e32 v75, 0xbe3c28d5, v111
	v_fmamk_f32 v49, v47, 0x3dbcf732, v64
	v_mul_f32_e32 v79, 0xbe3c28d5, v112
	v_mul_f32_e32 v105, 0x3f763a35, v112
	v_sub_f32_e32 v114, v35, v17
	v_fmamk_f32 v51, v47, 0xbf7ba420, v75
	v_add_f32_e32 v2, v49, v2
	v_fma_f32 v49, 0xbf7ba420, v48, -v79
	v_mul_f32_e32 v66, 0xbf7ee86f, v112
	v_mul_f32_e32 v94, 0x3f763a35, v111
	v_add_f32_e32 v4, v51, v4
	v_fma_f32 v51, 0xbe8c1d8e, v48, -v105
	v_add_f32_e32 v5, v49, v5
	v_add_f32_e32 v49, v16, v34
	v_mul_f32_e32 v68, 0xbf763a35, v114
	v_fma_f32 v50, 0x3dbcf732, v48, -v66
	v_fmamk_f32 v52, v47, 0xbe8c1d8e, v94
	v_sub_f32_e32 v116, v34, v16
	v_add_f32_e32 v7, v51, v7
	v_fmamk_f32 v51, v49, 0xbe8c1d8e, v68
	v_mul_f32_e32 v106, 0x3f2c7751, v114
	v_add_f32_e32 v3, v50, v3
	v_add_f32_e32 v6, v52, v6
	;; [unrolled: 1-line block ×3, first 2 shown]
	v_mul_f32_e32 v69, 0xbf763a35, v116
	v_mul_f32_e32 v81, 0x3f06c442, v114
	;; [unrolled: 1-line block ×3, first 2 shown]
	v_add_f32_e32 v2, v51, v2
	v_fmamk_f32 v51, v49, 0x3f3d2fb0, v106
	v_sub_f32_e32 v119, v29, v23
	v_fma_f32 v52, 0xbe8c1d8e, v50, -v69
	v_fmamk_f32 v53, v49, 0xbf59a7d5, v81
	v_fma_f32 v54, 0xbf59a7d5, v50, -v85
	v_mul_f32_e32 v110, 0x3f2c7751, v116
	v_sub_f32_e32 v121, v28, v22
	v_add_f32_e32 v6, v51, v6
	v_add_f32_e32 v51, v22, v28
	v_mul_f32_e32 v72, 0xbf4c4adb, v119
	v_add_f32_e32 v3, v52, v3
	v_add_f32_e32 v4, v53, v4
	;; [unrolled: 1-line block ×4, first 2 shown]
	v_mul_f32_e32 v74, 0xbf4c4adb, v121
	v_fma_f32 v53, 0x3f3d2fb0, v50, -v110
	v_mul_f32_e32 v87, 0x3f763a35, v119
	v_fmamk_f32 v54, v51, 0xbf1a4643, v72
	v_mul_f32_e32 v92, 0x3f763a35, v121
	v_fma_f32 v55, 0xbf1a4643, v52, -v74
	v_add_f32_e32 v7, v53, v7
	v_fmamk_f32 v53, v51, 0xbe8c1d8e, v87
	v_add_f32_e32 v2, v54, v2
	v_fma_f32 v54, 0xbe8c1d8e, v52, -v92
	v_mul_f32_e32 v109, 0xbeb8f4ab, v119
	v_sub_f32_e32 v122, v31, v21
	v_sub_f32_e32 v123, v30, v20
	v_add_f32_e32 v3, v55, v3
	v_add_f32_e32 v4, v53, v4
	;; [unrolled: 1-line block ×3, first 2 shown]
	v_fmamk_f32 v55, v51, 0x3f6eb680, v109
	v_add_f32_e32 v53, v20, v30
	v_add_f32_e32 v54, v21, v31
	v_mul_f32_e32 v80, 0xbf06c442, v123
	v_mul_f32_e32 v91, 0x3f65296c, v122
	;; [unrolled: 1-line block ×4, first 2 shown]
	v_add_f32_e32 v6, v55, v6
	v_fma_f32 v55, 0xbf59a7d5, v54, -v80
	v_fmamk_f32 v83, v53, 0x3ee437d1, v91
	v_mul_f32_e32 v103, 0x3f65296c, v123
	v_sub_f32_e32 v124, v25, v27
	v_fmamk_f32 v56, v53, 0xbf59a7d5, v78
	v_fma_f32 v118, 0x3f6eb680, v52, -v115
	v_add_f32_e32 v3, v55, v3
	v_add_f32_e32 v4, v83, v4
	v_sub_f32_e32 v125, v24, v26
	v_fma_f32 v113, 0x3ee437d1, v54, -v103
	v_add_f32_e32 v55, v26, v24
	v_mul_f32_e32 v83, 0xbe3c28d5, v124
	v_mul_f32_e32 v117, 0xbf7ee86f, v122
	v_mul_f32_e32 v120, 0xbf7ee86f, v123
	s_clause 0x1
	s_load_dwordx2 s[6:7], s[4:5], 0x20
	s_load_dwordx2 s[2:3], s[4:5], 0x8
	v_add_f32_e32 v2, v56, v2
	v_add_f32_e32 v56, v27, v25
	v_mul_f32_e32 v86, 0xbe3c28d5, v125
	v_mul_f32_e32 v102, 0x3eb8f4ab, v124
	;; [unrolled: 1-line block ×3, first 2 shown]
	v_add_f32_e32 v5, v113, v5
	v_fmamk_f32 v126, v55, 0xbf7ba420, v83
	v_fmamk_f32 v130, v53, 0x3dbcf732, v117
	v_mul_f32_e32 v113, 0xbf06c442, v124
	v_add_f32_e32 v7, v118, v7
	v_fma_f32 v131, 0x3dbcf732, v54, -v120
	v_mul_f32_e32 v118, 0xbf06c442, v125
	v_fma_f32 v127, 0xbf7ba420, v56, -v86
	v_fmamk_f32 v128, v55, 0x3f6eb680, v102
	v_fma_f32 v129, 0x3f6eb680, v56, -v104
	v_add_f32_e32 v2, v126, v2
	v_add_f32_e32 v126, v130, v6
	v_fmamk_f32 v130, v55, 0xbf59a7d5, v113
	v_add_f32_e32 v131, v131, v7
	v_fma_f32 v132, 0xbf59a7d5, v56, -v118
	v_add_f32_e32 v3, v127, v3
	v_add_f32_e32 v6, v128, v4
	;; [unrolled: 1-line block ×5, first 2 shown]
	s_waitcnt lgkmcnt(0)
	s_barrier
	buffer_gl0_inv
	s_and_saveexec_b32 s0, vcc_lo
	s_cbranch_execz .LBB0_7
; %bb.6:
	v_mul_f32_e32 v131, 0xbe8c1d8e, v41
	v_mul_f32_e32 v129, 0xbf59a7d5, v44
	;; [unrolled: 1-line block ×5, first 2 shown]
	v_fmamk_f32 v134, v99, 0x3f763a35, v131
	v_fmamk_f32 v135, v101, 0xbf06c442, v129
	;; [unrolled: 1-line block ×3, first 2 shown]
	v_mul_f32_e32 v127, 0x3ee437d1, v48
	v_fmamk_f32 v138, v108, 0xbf2c7751, v128
	v_add_f32_e32 v136, v134, v9
	v_mul_f32_e32 v134, 0x3f2c7751, v107
	v_fmamk_f32 v139, v43, 0xbf59a7d5, v133
	v_add_f32_e32 v137, v137, v8
	v_add_f32_e32 v10, v10, v8
	;; [unrolled: 1-line block ×3, first 2 shown]
	v_mul_f32_e32 v126, 0xbf7ba420, v50
	v_mul_f32_e32 v135, 0xbf65296c, v111
	v_fmamk_f32 v140, v112, 0x3f65296c, v127
	v_fmamk_f32 v141, v45, 0x3f3d2fb0, v134
	v_add_f32_e32 v136, v138, v136
	v_add_f32_e32 v137, v139, v137
	;; [unrolled: 1-line block ×4, first 2 shown]
	v_mul_f32_e32 v130, 0x3dbcf732, v52
	v_fmamk_f32 v138, v116, 0x3e3c28d5, v126
	v_add_f32_e32 v136, v140, v136
	v_add_f32_e32 v137, v141, v137
	v_fmamk_f32 v139, v47, 0x3ee437d1, v135
	v_add_f32_e32 v11, v37, v11
	v_mul_f32_e32 v159, 0xbe3c28d5, v114
	v_add_f32_e32 v10, v38, v10
	v_add_f32_e32 v36, v138, v136
	;; [unrolled: 1-line block ×3, first 2 shown]
	v_fmamk_f32 v136, v121, 0xbf7ee86f, v130
	v_add_f32_e32 v11, v39, v11
	v_fmamk_f32 v39, v49, 0xbf7ba420, v159
	v_mul_f32_e32 v160, 0x3f7ee86f, v119
	v_mul_f32_e32 v161, 0x3f6eb680, v54
	v_add_f32_e32 v10, v32, v10
	v_mul_f32_e32 v152, 0xbf59a7d5, v41
	v_add_f32_e32 v36, v136, v36
	v_add_f32_e32 v37, v39, v37
	v_fmamk_f32 v38, v51, 0x3dbcf732, v160
	v_fmamk_f32 v39, v123, 0x3eb8f4ab, v161
	v_add_f32_e32 v11, v33, v11
	v_mul_f32_e32 v162, 0xbeb8f4ab, v122
	v_add_f32_e32 v136, v34, v10
	v_fmamk_f32 v10, v99, 0x3f06c442, v152
	v_mul_f32_e32 v34, 0x3ee437d1, v44
	v_add_f32_e32 v32, v38, v37
	v_add_f32_e32 v137, v35, v11
	v_fmamk_f32 v11, v53, 0x3f6eb680, v162
	v_add_f32_e32 v33, v39, v36
	v_add_f32_e32 v10, v10, v9
	v_fmamk_f32 v35, v101, 0xbf65296c, v34
	v_mul_f32_e32 v36, 0x3dbcf732, v46
	v_mul_f32_e32 v38, 0xbf06c442, v89
	v_add_f32_e32 v32, v11, v32
	v_mul_f32_e32 v153, 0x3f65296c, v100
	v_add_f32_e32 v10, v35, v10
	v_fmamk_f32 v11, v108, 0x3f7ee86f, v36
	v_mul_f32_e32 v35, 0xbf1a4643, v48
	v_fmamk_f32 v138, v40, 0xbf59a7d5, v38
	v_mul_f32_e32 v154, 0x3f6eb680, v50
	v_fmamk_f32 v139, v43, 0x3ee437d1, v153
	v_add_f32_e32 v10, v11, v10
	v_fmamk_f32 v11, v112, 0xbf4c4adb, v35
	v_add_f32_e32 v138, v138, v8
	v_mul_f32_e32 v155, 0xbf7ee86f, v107
	v_mul_f32_e32 v163, 0xbf1a4643, v56
	;; [unrolled: 1-line block ×3, first 2 shown]
	v_add_f32_e32 v10, v11, v10
	v_fmamk_f32 v11, v116, 0x3eb8f4ab, v154
	v_add_f32_e32 v138, v139, v138
	v_fmamk_f32 v139, v45, 0x3dbcf732, v155
	v_mul_f32_e32 v157, 0x3f4c4adb, v111
	v_mul_f32_e32 v164, 0xbf4c4adb, v124
	v_fmamk_f32 v37, v125, 0x3f4c4adb, v163
	v_add_f32_e32 v10, v11, v10
	v_fmamk_f32 v140, v121, 0x3e3c28d5, v156
	v_mul_f32_e32 v158, 0x3f3d2fb0, v54
	v_add_f32_e32 v138, v139, v138
	v_fmamk_f32 v139, v47, 0xbf1a4643, v157
	v_mul_f32_e32 v165, 0xbeb8f4ab, v114
	v_fmamk_f32 v39, v55, 0xbf1a4643, v164
	v_add_f32_e32 v11, v37, v33
	v_add_f32_e32 v33, v140, v10
	v_fmamk_f32 v37, v123, 0xbf2c7751, v158
	v_add_f32_e32 v138, v139, v138
	v_fmamk_f32 v139, v49, 0x3f6eb680, v165
	v_mul_f32_e32 v166, 0xbe3c28d5, v119
	v_mul_f32_e32 v144, 0xbe3c28d5, v99
	v_add_f32_e32 v10, v39, v32
	v_add_f32_e32 v32, v37, v33
	v_add_f32_e32 v33, v139, v138
	v_fmamk_f32 v37, v51, 0xbf7ba420, v166
	v_mul_f32_e32 v39, 0x3f2c7751, v122
	v_mul_f32_e32 v167, 0xbe8c1d8e, v56
	v_fmamk_f32 v138, v41, 0xbf7ba420, v144
	v_mul_f32_e32 v145, 0x3eb8f4ab, v101
	v_add_f32_e32 v33, v37, v33
	v_fmamk_f32 v37, v53, 0x3f3d2fb0, v39
	v_fmamk_f32 v139, v125, 0x3f763a35, v167
	v_add_f32_e32 v140, v138, v9
	v_fmamk_f32 v141, v44, 0x3f6eb680, v145
	v_mul_f32_e32 v138, 0xbf06c442, v108
	v_add_f32_e32 v37, v37, v33
	v_add_f32_e32 v33, v139, v32
	v_mul_f32_e32 v149, 0xbe3c28d5, v89
	v_add_f32_e32 v32, v141, v140
	v_fmamk_f32 v139, v46, 0xbf59a7d5, v138
	v_mul_f32_e32 v146, 0x3f2c7751, v112
	v_mul_f32_e32 v150, 0x3eb8f4ab, v100
	v_fma_f32 v140, 0xbf7ba420, v40, -v149
	v_mul_f32_e32 v147, 0xbf4c4adb, v116
	v_add_f32_e32 v32, v139, v32
	v_fmamk_f32 v139, v48, 0x3f3d2fb0, v146
	v_fma_f32 v141, 0x3f6eb680, v43, -v150
	v_add_f32_e32 v140, v140, v8
	v_mul_f32_e32 v151, 0xbf06c442, v107
	v_mul_f32_e32 v148, 0x3f65296c, v121
	v_add_f32_e32 v32, v139, v32
	v_fmamk_f32 v139, v50, 0xbf1a4643, v147
	v_mul_f32_e32 v168, 0xbf763a35, v124
	v_add_f32_e32 v141, v141, v140
	v_fma_f32 v142, 0xbf59a7d5, v45, -v151
	v_mul_f32_e32 v140, 0x3f2c7751, v111
	v_add_f32_e32 v32, v139, v32
	v_fmamk_f32 v143, v52, 0x3ee437d1, v148
	v_mul_f32_e32 v139, 0xbf763a35, v123
	v_fmac_f32_e32 v152, 0xbf06c442, v99
	v_add_f32_e32 v142, v142, v141
	v_fma_f32 v169, 0x3f3d2fb0, v47, -v140
	v_mul_f32_e32 v141, 0xbf4c4adb, v114
	v_fmamk_f32 v170, v55, 0xbe8c1d8e, v168
	v_add_f32_e32 v171, v143, v32
	v_fmamk_f32 v172, v54, 0xbe8c1d8e, v139
	v_fma_f32 v38, 0xbf59a7d5, v40, -v38
	v_add_f32_e32 v152, v152, v9
	v_fmac_f32_e32 v34, 0x3f65296c, v101
	v_add_f32_e32 v142, v169, v142
	v_fma_f32 v169, 0xbf1a4643, v49, -v141
	v_mul_f32_e32 v143, 0x3f65296c, v119
	v_add_f32_e32 v32, v170, v37
	v_add_f32_e32 v37, v172, v171
	;; [unrolled: 1-line block ×3, first 2 shown]
	v_fma_f32 v171, 0x3ee437d1, v43, -v153
	v_add_f32_e32 v34, v34, v152
	v_fmac_f32_e32 v36, 0xbf7ee86f, v108
	v_add_f32_e32 v169, v169, v142
	v_fma_f32 v170, 0x3ee437d1, v51, -v143
	v_mul_f32_e32 v142, 0xbf763a35, v122
	v_mul_f32_e32 v153, 0x3f7ee86f, v125
	v_add_f32_e32 v38, v171, v38
	v_fma_f32 v155, 0x3dbcf732, v45, -v155
	v_add_f32_e32 v34, v36, v34
	v_fmac_f32_e32 v35, 0x3f4c4adb, v112
	v_add_f32_e32 v169, v170, v169
	v_fma_f32 v170, 0xbe8c1d8e, v53, -v142
	v_fmamk_f32 v36, v56, 0x3dbcf732, v153
	v_mul_f32_e32 v152, 0x3f7ee86f, v124
	v_add_f32_e32 v38, v155, v38
	v_fma_f32 v155, 0xbf1a4643, v47, -v157
	v_add_f32_e32 v34, v35, v34
	v_fmac_f32_e32 v154, 0xbeb8f4ab, v116
	v_add_f32_e32 v169, v170, v169
	v_add_f32_e32 v35, v36, v37
	v_fma_f32 v36, 0x3dbcf732, v55, -v152
	v_add_f32_e32 v37, v155, v38
	v_fma_f32 v38, 0x3f6eb680, v49, -v165
	v_add_f32_e32 v154, v154, v34
	v_fmac_f32_e32 v156, 0xbe3c28d5, v121
	v_mul_f32_e32 v165, 0xbf4c4adb, v99
	v_add_f32_e32 v34, v36, v169
	v_add_f32_e32 v36, v38, v37
	v_fma_f32 v37, 0xbf7ba420, v51, -v166
	v_add_f32_e32 v38, v156, v154
	v_fmamk_f32 v154, v41, 0xbf1a4643, v165
	v_mul_f32_e32 v166, 0x3f763a35, v101
	v_mul_f32_e32 v169, 0xbeb8f4ab, v108
	v_add_f32_e32 v36, v37, v36
	v_fma_f32 v37, 0x3f3d2fb0, v53, -v39
	v_add_f32_e32 v39, v154, v9
	v_fmamk_f32 v154, v44, 0xbe8c1d8e, v166
	v_mul_f32_e32 v170, 0xbf4c4adb, v89
	v_fmac_f32_e32 v158, 0x3f2c7751, v123
	v_add_f32_e32 v36, v37, v36
	v_mul_f32_e32 v171, 0xbf06c442, v112
	v_add_f32_e32 v37, v154, v39
	v_fmamk_f32 v39, v46, 0x3f6eb680, v169
	v_fma_f32 v156, 0xbe8c1d8e, v55, -v168
	v_fma_f32 v154, 0xbf1a4643, v40, -v170
	v_mul_f32_e32 v168, 0x3f763a35, v100
	v_add_f32_e32 v38, v158, v38
	v_add_f32_e32 v37, v39, v37
	v_fmamk_f32 v39, v48, 0xbf59a7d5, v171
	v_mul_f32_e32 v172, 0x3f7ee86f, v116
	v_add_f32_e32 v154, v154, v8
	v_fma_f32 v155, 0xbe8c1d8e, v43, -v168
	v_mul_f32_e32 v158, 0xbeb8f4ab, v107
	v_fmac_f32_e32 v167, 0xbf763a35, v125
	v_add_f32_e32 v39, v39, v37
	v_fmamk_f32 v157, v50, 0x3dbcf732, v172
	v_mul_f32_e32 v173, 0xbf2c7751, v121
	v_add_f32_e32 v154, v155, v154
	v_fma_f32 v174, 0x3f6eb680, v45, -v158
	v_mul_f32_e32 v155, 0xbf06c442, v111
	v_add_f32_e32 v37, v167, v38
	v_add_f32_e32 v38, v157, v39
	v_fmamk_f32 v39, v52, 0x3f3d2fb0, v173
	v_add_f32_e32 v157, v174, v154
	v_fma_f32 v167, 0xbf59a7d5, v47, -v155
	v_mul_f32_e32 v154, 0x3f7ee86f, v114
	v_fmac_f32_e32 v131, 0xbf763a35, v99
	v_add_f32_e32 v38, v39, v38
	v_fma_f32 v132, 0xbe8c1d8e, v40, -v132
	v_add_f32_e32 v39, v167, v157
	v_fma_f32 v167, 0x3dbcf732, v49, -v154
	v_mul_f32_e32 v157, 0xbf2c7751, v119
	v_fmac_f32_e32 v129, 0x3f06c442, v101
	v_add_f32_e32 v132, v132, v8
	v_fma_f32 v133, 0xbf59a7d5, v43, -v133
	v_add_f32_e32 v39, v167, v39
	v_add_f32_e32 v167, v131, v9
	v_fma_f32 v175, 0x3f3d2fb0, v51, -v157
	v_mul_f32_e32 v131, 0xbe3c28d5, v122
	v_fmac_f32_e32 v128, 0x3f2c7751, v108
	v_add_f32_e32 v132, v133, v132
	v_add_f32_e32 v129, v129, v167
	v_fma_f32 v133, 0x3f3d2fb0, v45, -v134
	v_add_f32_e32 v36, v156, v36
	v_mul_f32_e32 v156, 0xbe3c28d5, v123
	v_add_f32_e32 v39, v175, v39
	v_fma_f32 v134, 0xbf7ba420, v53, -v131
	v_add_f32_e32 v128, v128, v129
	v_fmac_f32_e32 v127, 0xbf65296c, v112
	v_add_f32_e32 v129, v133, v132
	v_fma_f32 v132, 0x3ee437d1, v47, -v135
	v_fmamk_f32 v174, v54, 0xbf7ba420, v156
	v_add_f32_e32 v133, v134, v39
	v_add_f32_e32 v39, v127, v128
	v_fmac_f32_e32 v126, 0xbe3c28d5, v116
	v_mul_f32_e32 v134, 0x3f65296c, v125
	v_add_f32_e32 v128, v132, v129
	v_fma_f32 v129, 0xbf7ba420, v49, -v159
	v_add_f32_e32 v38, v174, v38
	v_add_f32_e32 v39, v126, v39
	v_fmac_f32_e32 v130, 0x3f7ee86f, v121
	v_fmamk_f32 v126, v56, 0x3ee437d1, v134
	v_add_f32_e32 v128, v129, v128
	v_fma_f32 v129, 0x3dbcf732, v51, -v160
	v_mul_f32_e32 v127, 0x3f65296c, v124
	v_add_f32_e32 v130, v130, v39
	v_fmac_f32_e32 v161, 0xbeb8f4ab, v123
	v_add_f32_e32 v39, v126, v38
	v_add_f32_e32 v126, v129, v128
	v_fma_f32 v128, 0x3f6eb680, v53, -v162
	v_mul_f32_e32 v99, 0xbf7ee86f, v99
	v_fma_f32 v132, 0x3ee437d1, v55, -v127
	v_add_f32_e32 v129, v161, v130
	v_mul_f32_e32 v130, 0xbf7ee86f, v89
	v_add_f32_e32 v126, v128, v126
	v_fma_f32 v128, 0xbf1a4643, v55, -v164
	v_fmamk_f32 v89, v41, 0x3dbcf732, v99
	v_mul_f32_e32 v101, 0xbe3c28d5, v101
	v_add_f32_e32 v38, v132, v133
	v_mul_f32_e32 v100, 0xbe3c28d5, v100
	v_add_f32_e32 v128, v128, v126
	v_fma_f32 v126, 0x3dbcf732, v40, -v130
	v_add_f32_e32 v89, v89, v9
	v_fmamk_f32 v132, v44, 0xbf7ba420, v101
	v_mul_f32_e32 v108, 0x3f763a35, v108
	v_fma_f32 v133, 0xbf7ba420, v43, -v100
	v_add_f32_e32 v126, v126, v8
	v_mul_f32_e32 v107, 0x3f763a35, v107
	v_add_f32_e32 v89, v132, v89
	v_fmamk_f32 v132, v46, 0xbe8c1d8e, v108
	v_mul_f32_e32 v112, 0x3eb8f4ab, v112
	v_add_f32_e32 v126, v133, v126
	v_fma_f32 v133, 0xbe8c1d8e, v45, -v107
	v_mul_f32_e32 v111, 0x3eb8f4ab, v111
	v_add_f32_e32 v89, v132, v89
	v_fmamk_f32 v132, v48, 0x3f6eb680, v112
	v_mul_f32_e32 v116, 0xbf65296c, v116
	v_add_f32_e32 v126, v133, v126
	v_fma_f32 v133, 0x3f6eb680, v47, -v111
	;; [unrolled: 6-line block ×3, first 2 shown]
	v_mul_f32_e32 v119, 0xbf06c442, v119
	v_add_f32_e32 v89, v132, v89
	v_fmamk_f32 v132, v52, 0xbf59a7d5, v121
	v_mul_f32_e32 v123, 0x3f4c4adb, v123
	v_fmac_f32_e32 v163, 0xbf4c4adb, v125
	v_add_f32_e32 v126, v133, v126
	v_fma_f32 v133, 0xbf59a7d5, v51, -v119
	v_mul_f32_e32 v122, 0x3f4c4adb, v122
	v_add_f32_e32 v89, v132, v89
	v_fmamk_f32 v132, v54, 0xbf1a4643, v123
	v_mul_f32_e32 v125, 0x3f2c7751, v125
	v_mul_f32_e32 v135, 0x3ee437d1, v41
	v_add_f32_e32 v126, v133, v126
	v_fma_f32 v133, 0xbf1a4643, v53, -v122
	v_add_f32_e32 v89, v132, v89
	v_fmamk_f32 v132, v56, 0x3f3d2fb0, v125
	v_mul_f32_e32 v159, 0xbf1a4643, v44
	v_add_f32_e32 v82, v82, v135
	v_add_f32_e32 v126, v133, v126
	v_mul_f32_e32 v133, 0xbf7ba420, v46
	v_add_f32_e32 v89, v132, v89
	v_add_f32_e32 v90, v90, v159
	v_mul_f32_e32 v132, 0x3ee437d1, v40
	v_add_f32_e32 v82, v82, v9
	v_mul_f32_e32 v159, 0xbf1a4643, v43
	v_add_f32_e32 v29, v29, v137
	v_add_f32_e32 v28, v28, v136
	v_sub_f32_e32 v77, v132, v77
	v_add_f32_e32 v82, v90, v82
	v_add_f32_e32 v90, v93, v133
	v_mul_f32_e32 v93, 0xbe8c1d8e, v48
	v_sub_f32_e32 v84, v159, v84
	v_add_f32_e32 v77, v77, v8
	v_mul_f32_e32 v132, 0xbf7ba420, v45
	v_add_f32_e32 v82, v90, v82
	v_add_f32_e32 v90, v105, v93
	v_mul_f32_e32 v93, 0x3f3d2fb0, v50
	v_add_f32_e32 v29, v31, v29
	v_add_f32_e32 v77, v84, v77
	v_sub_f32_e32 v84, v132, v88
	v_mul_f32_e32 v88, 0xbe8c1d8e, v47
	v_add_f32_e32 v82, v90, v82
	v_add_f32_e32 v90, v110, v93
	v_mul_f32_e32 v93, 0x3f6eb680, v52
	v_add_f32_e32 v25, v25, v29
	v_add_f32_e32 v77, v84, v77
	v_sub_f32_e32 v84, v88, v94
	v_mul_f32_e32 v94, 0x3f3d2fb0, v49
	v_add_f32_e32 v82, v90, v82
	v_add_f32_e32 v90, v115, v93
	v_add_f32_e32 v25, v27, v25
	v_add_f32_e32 v27, v30, v28
	v_add_f32_e32 v77, v84, v77
	v_mul_f32_e32 v84, 0x3dbcf732, v54
	v_sub_f32_e32 v93, v94, v106
	v_mul_f32_e32 v94, 0x3f6eb680, v51
	v_add_f32_e32 v82, v90, v82
	v_mul_f32_e32 v90, 0x3f3d2fb0, v41
	v_add_f32_e32 v25, v21, v25
	v_add_f32_e32 v24, v24, v27
	v_add_f32_e32 v84, v120, v84
	v_add_f32_e32 v77, v93, v77
	v_sub_f32_e32 v93, v94, v109
	v_mul_f32_e32 v94, 0x3dbcf732, v44
	v_add_f32_e32 v65, v65, v90
	v_add_f32_e32 v23, v23, v25
	;; [unrolled: 1-line block ×4, first 2 shown]
	v_mul_f32_e32 v84, 0x3dbcf732, v53
	v_add_f32_e32 v70, v70, v94
	v_add_f32_e32 v65, v65, v9
	v_fma_f32 v25, 0xbf7ba420, v41, -v144
	v_add_f32_e32 v17, v17, v23
	v_add_f32_e32 v23, v20, v24
	;; [unrolled: 1-line block ×3, first 2 shown]
	v_mul_f32_e32 v93, 0xbf1a4643, v46
	v_sub_f32_e32 v84, v84, v117
	v_add_f32_e32 v65, v70, v65
	v_mul_f32_e32 v70, 0x3f3d2fb0, v40
	v_add_f32_e32 v24, v25, v9
	v_fma_f32 v25, 0x3f6eb680, v44, -v145
	v_add_f32_e32 v17, v19, v17
	v_add_f32_e32 v19, v22, v23
	;; [unrolled: 1-line block ×3, first 2 shown]
	v_mul_f32_e32 v93, 0xbf7ba420, v48
	v_add_f32_e32 v77, v84, v77
	v_mul_f32_e32 v84, 0x3dbcf732, v43
	v_sub_f32_e32 v62, v70, v62
	v_fmac_f32_e32 v149, 0xbf7ba420, v40
	v_add_f32_e32 v22, v25, v24
	v_fma_f32 v23, 0xbf59a7d5, v46, -v138
	v_add_f32_e32 v13, v13, v17
	v_add_f32_e32 v16, v16, v19
	;; [unrolled: 1-line block ×3, first 2 shown]
	v_sub_f32_e32 v67, v84, v67
	v_add_f32_e32 v62, v62, v8
	v_mul_f32_e32 v79, 0xbf1a4643, v45
	v_add_f32_e32 v17, v149, v8
	v_fmac_f32_e32 v150, 0x3f6eb680, v43
	v_add_f32_e32 v19, v23, v22
	v_fma_f32 v22, 0x3f3d2fb0, v48, -v146
	v_add_f32_e32 v13, v15, v13
	v_add_f32_e32 v15, v18, v16
	;; [unrolled: 1-line block ×3, first 2 shown]
	v_mul_f32_e32 v73, 0xbf59a7d5, v50
	v_add_f32_e32 v62, v67, v62
	v_sub_f32_e32 v67, v79, v71
	v_mul_f32_e32 v71, 0xbf7ba420, v47
	v_add_f32_e32 v16, v150, v17
	v_fmac_f32_e32 v151, 0xbf59a7d5, v45
	v_add_f32_e32 v17, v22, v19
	v_fma_f32 v18, 0xbf1a4643, v50, -v147
	v_add_f32_e32 v12, v12, v15
	v_add_f32_e32 v65, v70, v65
	;; [unrolled: 1-line block ×3, first 2 shown]
	v_mul_f32_e32 v73, 0xbe8c1d8e, v52
	v_mul_f32_e32 v79, 0xbf59a7d5, v55
	v_add_f32_e32 v62, v67, v62
	v_sub_f32_e32 v67, v71, v75
	v_mul_f32_e32 v71, 0xbf59a7d5, v49
	v_add_f32_e32 v1, v1, v13
	v_add_f32_e32 v13, v151, v16
	v_fmac_f32_e32 v140, 0x3f3d2fb0, v47
	v_add_f32_e32 v15, v18, v17
	v_fma_f32 v16, 0x3ee437d1, v52, -v148
	v_add_f32_e32 v12, v14, v12
	v_fma_f32 v14, 0xbf1a4643, v41, -v165
	v_add_f32_e32 v65, v70, v65
	v_add_f32_e32 v70, v92, v73
	v_sub_f32_e32 v73, v79, v113
	v_add_f32_e32 v62, v67, v62
	v_sub_f32_e32 v67, v71, v81
	v_mul_f32_e32 v79, 0xbe8c1d8e, v51
	v_add_f32_e32 v13, v140, v13
	v_fmac_f32_e32 v141, 0xbf1a4643, v49
	v_add_f32_e32 v15, v16, v15
	v_fma_f32 v16, 0xbe8c1d8e, v54, -v139
	v_add_f32_e32 v14, v14, v9
	v_fma_f32 v17, 0xbe8c1d8e, v44, -v166
	v_mul_f32_e32 v75, 0x3ee437d1, v54
	v_add_f32_e32 v65, v70, v65
	v_add_f32_e32 v70, v73, v77
	;; [unrolled: 1-line block ×3, first 2 shown]
	v_sub_f32_e32 v67, v79, v87
	v_mul_f32_e32 v73, 0x3f6eb680, v41
	v_add_f32_e32 v13, v141, v13
	v_fmac_f32_e32 v143, 0x3ee437d1, v51
	v_add_f32_e32 v0, v0, v12
	v_add_f32_e32 v12, v16, v15
	;; [unrolled: 1-line block ×3, first 2 shown]
	v_fma_f32 v15, 0x3f6eb680, v46, -v169
	v_add_f32_e32 v75, v103, v75
	v_add_f32_e32 v62, v67, v62
	v_mul_f32_e32 v67, 0x3f3d2fb0, v44
	v_add_f32_e32 v58, v58, v73
	v_add_f32_e32 v13, v143, v13
	v_fmac_f32_e32 v142, 0xbe8c1d8e, v53
	v_add_f32_e32 v14, v15, v14
	v_fma_f32 v15, 0xbf59a7d5, v48, -v171
	v_add_f32_e32 v65, v75, v65
	v_mul_f32_e32 v75, 0x3ee437d1, v53
	v_mul_f32_e32 v77, 0x3f6eb680, v56
	v_add_f32_e32 v60, v60, v67
	v_add_f32_e32 v58, v58, v9
	v_mul_f32_e32 v67, 0x3f6eb680, v40
	v_fma_f32 v16, 0x3dbcf732, v56, -v153
	v_add_f32_e32 v17, v142, v13
	v_fmac_f32_e32 v152, 0x3dbcf732, v55
	v_add_f32_e32 v14, v15, v14
	v_fma_f32 v15, 0x3dbcf732, v50, -v172
	v_sub_f32_e32 v73, v75, v91
	v_add_f32_e32 v75, v104, v77
	v_mul_f32_e32 v77, 0x3f6eb680, v55
	v_add_f32_e32 v58, v60, v58
	v_mul_f32_e32 v60, 0x3f3d2fb0, v43
	v_sub_f32_e32 v57, v67, v57
	v_add_f32_e32 v13, v16, v12
	v_add_f32_e32 v12, v152, v17
	;; [unrolled: 1-line block ×3, first 2 shown]
	v_fma_f32 v15, 0x3f3d2fb0, v52, -v173
	v_fma_f32 v17, 0x3dbcf732, v41, -v99
	v_add_f32_e32 v62, v73, v62
	v_sub_f32_e32 v73, v77, v102
	v_mul_f32_e32 v77, 0x3ee437d1, v46
	v_mul_f32_e32 v67, 0x3ee437d1, v45
	v_sub_f32_e32 v59, v60, v59
	v_add_f32_e32 v57, v57, v8
	v_fmac_f32_e32 v170, 0xbf1a4643, v40
	v_fmac_f32_e32 v130, 0x3dbcf732, v40
	v_add_f32_e32 v14, v15, v14
	v_add_f32_e32 v9, v17, v9
	v_fma_f32 v15, 0xbf7ba420, v44, -v101
	v_add_f32_e32 v63, v63, v77
	v_mul_f32_e32 v77, 0x3dbcf732, v48
	v_mul_f32_e32 v60, 0x3dbcf732, v47
	v_add_f32_e32 v57, v59, v57
	v_sub_f32_e32 v61, v67, v61
	v_add_f32_e32 v18, v170, v8
	v_fmac_f32_e32 v168, 0xbe8c1d8e, v43
	v_add_f32_e32 v8, v130, v8
	v_fmac_f32_e32 v100, 0xbf7ba420, v43
	v_add_f32_e32 v9, v15, v9
	v_fma_f32 v15, 0xbe8c1d8e, v46, -v108
	v_add_f32_e32 v58, v63, v58
	v_mul_f32_e32 v63, 0xbe8c1d8e, v49
	v_add_f32_e32 v66, v66, v77
	v_mul_f32_e32 v77, 0xbe8c1d8e, v50
	v_add_f32_e32 v61, v61, v57
	v_sub_f32_e32 v60, v60, v64
	v_add_f32_e32 v16, v168, v18
	v_fmac_f32_e32 v158, 0x3f6eb680, v45
	v_add_f32_e32 v8, v100, v8
	v_fmac_f32_e32 v107, 0xbe8c1d8e, v45
	v_add_f32_e32 v9, v15, v9
	v_fma_f32 v15, 0x3f6eb680, v48, -v112
	v_mul_f32_e32 v59, 0xbf1a4643, v51
	v_mul_f32_e32 v67, 0xbf1a4643, v52
	v_add_f32_e32 v66, v66, v58
	v_add_f32_e32 v69, v69, v77
	;; [unrolled: 1-line block ×3, first 2 shown]
	v_sub_f32_e32 v61, v63, v68
	v_add_f32_e32 v16, v158, v16
	v_fmac_f32_e32 v155, 0xbf59a7d5, v47
	v_add_f32_e32 v8, v107, v8
	v_fmac_f32_e32 v111, 0x3f6eb680, v47
	v_add_f32_e32 v9, v15, v9
	v_fma_f32 v15, 0x3ee437d1, v50, -v116
	v_mul_f32_e32 v79, 0xbf59a7d5, v53
	v_mul_f32_e32 v77, 0xbf59a7d5, v54
	v_add_f32_e32 v57, v73, v62
	v_add_f32_e32 v31, v69, v66
	;; [unrolled: 1-line block ×4, first 2 shown]
	v_sub_f32_e32 v28, v59, v72
	v_add_f32_e32 v16, v155, v16
	v_fmac_f32_e32 v154, 0x3dbcf732, v49
	v_add_f32_e32 v8, v111, v8
	v_fmac_f32_e32 v114, 0x3ee437d1, v49
	v_add_f32_e32 v9, v15, v9
	v_fma_f32 v15, 0xbf59a7d5, v52, -v121
	v_mul_f32_e32 v81, 0xbf7ba420, v55
	v_mul_f32_e32 v64, 0xbf7ba420, v56
	v_add_f32_e32 v29, v62, v31
	v_add_f32_e32 v31, v80, v77
	v_add_f32_e32 v27, v28, v60
	v_sub_f32_e32 v28, v79, v78
	v_add_f32_e32 v16, v154, v16
	v_fmac_f32_e32 v157, 0x3f3d2fb0, v51
	v_add_f32_e32 v8, v114, v8
	v_fmac_f32_e32 v119, 0xbf59a7d5, v51
	v_add_f32_e32 v9, v15, v9
	v_mul_lo_u16 v15, v97, 17
	v_mul_f32_e32 v90, 0xbf59a7d5, v56
	v_mul_f32_e32 v124, 0x3f2c7751, v124
	v_add_f32_e32 v29, v31, v29
	v_add_f32_e32 v30, v86, v64
	;; [unrolled: 1-line block ×3, first 2 shown]
	v_sub_f32_e32 v27, v81, v83
	v_fma_f32 v17, 0xbf7ba420, v54, -v156
	v_add_f32_e32 v16, v157, v16
	v_fmac_f32_e32 v131, 0xbf7ba420, v53
	v_fma_f32 v18, 0xbf1a4643, v54, -v123
	v_add_f32_e32 v8, v119, v8
	v_fmac_f32_e32 v122, 0xbf1a4643, v53
	v_and_b32_e32 v15, 0xffff, v15
	v_add_f32_e32 v90, v118, v90
	v_fma_f32 v135, 0x3f3d2fb0, v55, -v124
	v_add_f32_e32 v21, v30, v29
	v_add_f32_e32 v20, v27, v26
	v_add_f32_e32 v14, v17, v14
	v_fma_f32 v17, 0x3ee437d1, v56, -v134
	v_add_f32_e32 v16, v131, v16
	v_fmac_f32_e32 v127, 0x3ee437d1, v55
	v_add_f32_e32 v18, v18, v9
	v_fma_f32 v19, 0x3f3d2fb0, v56, -v125
	v_add_f32_e32 v22, v122, v8
	v_fmac_f32_e32 v124, 0x3f3d2fb0, v55
	v_add_lshl_u32 v23, v42, v15, 3
	v_add_f32_e32 v71, v90, v82
	v_add_f32_e32 v58, v75, v65
	;; [unrolled: 1-line block ×8, first 2 shown]
	ds_write2_b64 v23, v[0:1], v[20:21] offset1:1
	ds_write2_b64 v23, v[57:58], v[70:71] offset0:2 offset1:3
	ds_write2_b64 v23, v[88:89], v[128:129] offset0:4 offset1:5
	;; [unrolled: 1-line block ×7, first 2 shown]
	ds_write_b64 v23, v[2:3] offset:128
.LBB0_7:
	s_or_b32 exec_lo, exec_lo, s0
	v_add_lshl_u32 v99, v42, v97, 3
	s_waitcnt lgkmcnt(0)
	s_barrier
	buffer_gl0_inv
	v_cmp_gt_u16_e64 s0, 17, v97
	v_add_nc_u32_e32 v0, 0x800, v99
	ds_read2_b64 v[12:15], v99 offset1:34
	ds_read2_b64 v[8:11], v99 offset0:204 offset1:255
	ds_read2_b64 v[16:19], v99 offset0:68 offset1:102
	;; [unrolled: 1-line block ×6, first 2 shown]
	s_and_saveexec_b32 s1, s0
	s_cbranch_execz .LBB0_9
; %bb.8:
	v_add_nc_u32_e32 v0, 0x770, v99
	ds_read2_b64 v[4:7], v0 offset1:255
.LBB0_9:
	s_or_b32 exec_lo, exec_lo, s1
	v_add_co_u32 v36, s4, v97, 34
	v_add_co_u32 v40, s1, 0x44, v97
	v_add_co_ci_u32_e64 v41, null, 0, 0, s1
	v_and_b32_e32 v0, 0xff, v36
	v_and_b32_e32 v1, 0xff, v40
	v_add_co_u32 v38, s1, 0xffffffef, v97
	v_add_nc_u16 v55, v97, 0xcc
	v_mul_lo_u16 v0, 0xf1, v0
	v_mul_lo_u16 v43, 0xf1, v1
	v_add_co_ci_u32_e64 v1, null, 0, -1, s1
	v_add_nc_u32_e32 v56, 0xee, v97
	v_lshrrev_b16 v48, 12, v0
	v_cndmask_b32_e64 v0, v38, v97, s0
	v_cndmask_b32_e64 v1, v1, 0, s0
	v_lshrrev_b16 v49, 12, v43
	v_add_nc_u16 v38, v97, 0x66
	v_mul_lo_u16 v39, v48, 17
	v_mov_b32_e32 v57, 0xf0f1
	v_lshlrev_b64 v[44:45], 3, v[0:1]
	v_mul_lo_u16 v46, v49, 17
	v_and_b32_e32 v52, 0xff, v38
	v_sub_nc_u16 v1, v36, v39
	v_add_nc_u16 v39, v97, 0x88
	v_and_b32_e32 v60, 0xff, v55
	v_sub_nc_u16 v51, v40, v46
	v_add_co_u32 v46, s1, s2, v44
	v_add_co_ci_u32_e64 v47, s1, s3, v45, s1
	v_and_b32_e32 v44, 0xff, v39
	v_mul_lo_u16 v45, 0xf1, v52
	v_add_nc_u16 v52, v97, 0xaa
	v_mul_u32_u24_sdwa v57, v56, v57 dst_sel:DWORD dst_unused:UNUSED_PAD src0_sel:WORD_0 src1_sel:DWORD
	v_mul_lo_u16 v60, 0xf1, v60
	v_mul_lo_u16 v44, 0xf1, v44
	v_lshrrev_b16 v59, 12, v45
	v_and_b32_e32 v58, 0xff, v52
	v_lshrrev_b32_e32 v57, 20, v57
	global_load_dwordx2 v[89:90], v[46:47], off
	v_lshrrev_b16 v61, 12, v44
	v_mul_lo_u16 v62, v59, 17
	v_mul_lo_u16 v58, 0xf1, v58
	v_lshrrev_b16 v46, 12, v60
	v_mul_lo_u16 v57, v57, 17
	v_mul_lo_u16 v63, v61, 17
	v_mov_b32_e32 v50, 3
	v_lshrrev_b16 v58, 12, v58
	v_sub_nc_u16 v47, v38, v62
	v_sub_nc_u16 v56, v56, v57
	v_sub_nc_u16 v60, v39, v63
	v_mul_lo_u16 v63, v46, 17
	v_mul_lo_u16 v62, v58, 17
	v_lshlrev_b32_sdwa v53, v50, v1 dst_sel:DWORD dst_unused:UNUSED_PAD src0_sel:DWORD src1_sel:BYTE_0
	v_lshlrev_b32_sdwa v54, v50, v51 dst_sel:DWORD dst_unused:UNUSED_PAD src0_sel:DWORD src1_sel:BYTE_0
	;; [unrolled: 1-line block ×4, first 2 shown]
	v_sub_nc_u16 v52, v52, v62
	v_sub_nc_u16 v55, v55, v63
	v_and_b32_e32 v101, 0xffff, v56
	s_clause 0x2
	global_load_dwordx2 v[91:92], v53, s[2:3]
	global_load_dwordx2 v[87:88], v54, s[2:3]
	;; [unrolled: 1-line block ×3, first 2 shown]
	v_lshlrev_b32_sdwa v53, v50, v52 dst_sel:DWORD dst_unused:UNUSED_PAD src0_sel:DWORD src1_sel:BYTE_0
	global_load_dwordx2 v[85:86], v64, s[2:3]
	v_lshlrev_b32_sdwa v50, v50, v55 dst_sel:DWORD dst_unused:UNUSED_PAD src0_sel:DWORD src1_sel:BYTE_0
	v_lshlrev_b32_e32 v54, 3, v101
	s_clause 0x2
	global_load_dwordx2 v[83:84], v53, s[2:3]
	global_load_dwordx2 v[79:80], v50, s[2:3]
	;; [unrolled: 1-line block ×3, first 2 shown]
	v_cmp_lt_u16_e64 s1, 16, v97
	v_mad_u16 v1, v48, 34, v1
	v_add_co_ci_u32_e64 v37, null, 0, 0, s4
	s_load_dwordx4 s[4:7], s[6:7], 0x0
	v_cndmask_b32_e64 v50, 0, 34, s1
	v_and_b32_e32 v1, 0xff, v1
	s_waitcnt vmcnt(0) lgkmcnt(0)
	s_barrier
	buffer_gl0_inv
	v_add_nc_u32_e32 v0, v0, v50
	v_mov_b32_e32 v50, 34
	v_add_lshl_u32 v108, v42, v1, 3
	v_add_lshl_u32 v102, v42, v0, 3
	v_mul_u32_u24_sdwa v0, v49, v50 dst_sel:DWORD dst_unused:UNUSED_PAD src0_sel:WORD_0 src1_sel:DWORD
	v_mul_u32_u24_sdwa v49, v59, v50 dst_sel:DWORD dst_unused:UNUSED_PAD src0_sel:WORD_0 src1_sel:DWORD
	;; [unrolled: 1-line block ×5, first 2 shown]
	v_add_nc_u32_sdwa v0, v0, v51 dst_sel:DWORD dst_unused:UNUSED_PAD src0_sel:DWORD src1_sel:BYTE_0
	v_add_nc_u32_sdwa v47, v49, v47 dst_sel:DWORD dst_unused:UNUSED_PAD src0_sel:DWORD src1_sel:BYTE_0
	;; [unrolled: 1-line block ×5, first 2 shown]
	v_add_lshl_u32 v107, v42, v0, 3
	v_add_lshl_u32 v106, v42, v47, 3
	;; [unrolled: 1-line block ×5, first 2 shown]
	v_mul_f32_e32 v50, v11, v90
	v_mul_f32_e32 v51, v10, v90
	v_fma_f32 v0, v10, v89, -v50
	v_fmac_f32_e32 v51, v11, v89
	v_sub_f32_e32 v0, v12, v0
	v_sub_f32_e32 v1, v13, v51
	v_fma_f32 v10, v12, 2.0, -v0
	v_fma_f32 v11, v13, 2.0, -v1
	v_mul_f32_e32 v46, v33, v92
	v_mul_f32_e32 v47, v32, v92
	;; [unrolled: 1-line block ×14, first 2 shown]
	v_fma_f32 v12, v32, v91, -v46
	v_fmac_f32_e32 v47, v33, v91
	v_fma_f32 v13, v34, v87, -v48
	v_fmac_f32_e32 v49, v35, v87
	;; [unrolled: 2-line block ×7, first 2 shown]
	v_sub_f32_e32 v6, v14, v12
	v_sub_f32_e32 v7, v15, v47
	ds_write2_b64 v102, v[10:11], v[0:1] offset1:17
	v_sub_f32_e32 v10, v16, v13
	v_sub_f32_e32 v11, v17, v49
	;; [unrolled: 1-line block ×12, first 2 shown]
	v_fma_f32 v14, v14, 2.0, -v6
	v_fma_f32 v15, v15, 2.0, -v7
	;; [unrolled: 1-line block ×12, first 2 shown]
	ds_write2_b64 v108, v[14:15], v[6:7] offset1:17
	ds_write2_b64 v107, v[16:17], v[10:11] offset1:17
	ds_write2_b64 v106, v[18:19], v[12:13] offset1:17
	ds_write2_b64 v105, v[20:21], v[24:25] offset1:17
	ds_write2_b64 v104, v[22:23], v[26:27] offset1:17
	ds_write2_b64 v103, v[8:9], v[28:29] offset1:17
	s_and_saveexec_b32 s1, s0
	s_cbranch_execz .LBB0_11
; %bb.10:
	v_add_lshl_u32 v6, v42, v101, 3
	v_fma_f32 v5, v5, 2.0, -v1
	v_fma_f32 v4, v4, 2.0, -v0
	v_add_nc_u32_e32 v6, 0x800, v6
	ds_write2_b64 v6, v[4:5], v[0:1] offset0:220 offset1:237
.LBB0_11:
	s_or_b32 exec_lo, exec_lo, s1
	v_lshrrev_b16 v8, 13, v43
	v_lshrrev_b16 v9, 13, v45
	;; [unrolled: 1-line block ×3, first 2 shown]
	v_lshlrev_b32_e32 v4, 4, v97
	s_waitcnt lgkmcnt(0)
	v_mul_lo_u16 v8, v8, 34
	v_mul_lo_u16 v9, v9, 34
	;; [unrolled: 1-line block ×3, first 2 shown]
	s_barrier
	buffer_gl0_inv
	v_sub_nc_u16 v8, v40, v8
	global_load_dwordx4 v[4:7], v4, s[2:3] offset:136
	v_sub_nc_u16 v9, v38, v9
	v_add_nc_u32_e32 v48, 0x800, v99
	v_lshlrev_b64 v[55:56], 5, v[36:37]
	v_and_b32_e32 v47, 0xff, v8
	v_sub_nc_u16 v8, v39, v10
	v_and_b32_e32 v57, 0xff, v9
	v_lshlrev_b32_e32 v59, 5, v97
	v_lshl_add_u32 v100, v97, 3, v98
	v_lshlrev_b32_e32 v9, 4, v47
	v_and_b32_e32 v58, 0xff, v8
	v_lshlrev_b32_e32 v8, 4, v57
	v_add_lshl_u32 v110, v42, v57, 3
	v_add_lshl_u32 v111, v42, v47, 3
	global_load_dwordx4 v[16:19], v9, s[2:3] offset:136
	v_lshlrev_b32_e32 v9, 4, v58
	v_add_lshl_u32 v109, v42, v58, 3
	v_add_nc_u32_e32 v42, 0x800, v110
	s_clause 0x1
	global_load_dwordx4 v[12:15], v8, s[2:3] offset:136
	global_load_dwordx4 v[8:11], v9, s[2:3] offset:136
	ds_read2_b64 v[20:23], v99 offset0:136 offset1:170
	ds_read2_b64 v[24:27], v48 offset0:84 offset1:118
	;; [unrolled: 1-line block ×3, first 2 shown]
	ds_read2_b64 v[32:35], v99 offset1:34
	ds_read2_b64 v[43:46], v99 offset0:68 offset1:102
	ds_read_b64 v[53:54], v99 offset:3808
	ds_read2_b64 v[36:39], v48 offset0:152 offset1:186
	ds_read2_b64 v[49:52], v48 offset0:16 offset1:50
	s_waitcnt vmcnt(0) lgkmcnt(0)
	s_barrier
	buffer_gl0_inv
	v_add_nc_u32_e32 v47, 0x800, v109
	v_mul_f32_e32 v57, v23, v5
	v_mul_f32_e32 v58, v22, v5
	;; [unrolled: 1-line block ×8, first 2 shown]
	v_fma_f32 v22, v22, v4, -v57
	v_fmac_f32_e32 v58, v23, v4
	v_fma_f32 v23, v24, v6, -v60
	v_fmac_f32_e32 v61, v25, v6
	v_fma_f32 v24, v28, v4, -v62
	v_fma_f32 v26, v26, v6, -v64
	v_fmac_f32_e32 v63, v29, v4
	v_fmac_f32_e32 v65, v27, v6
	v_add_f32_e32 v25, v32, v22
	v_add_f32_e32 v27, v22, v23
	;; [unrolled: 1-line block ×6, first 2 shown]
	v_sub_f32_e32 v64, v63, v65
	v_add_f32_e32 v66, v35, v63
	v_add_f32_e32 v63, v63, v65
	v_sub_f32_e32 v29, v58, v61
	v_sub_f32_e32 v58, v22, v23
	;; [unrolled: 1-line block ×3, first 2 shown]
	v_add_f32_e32 v22, v25, v23
	v_fma_f32 v24, -0.5, v27, v32
	v_add_f32_e32 v23, v28, v61
	v_fma_f32 v25, -0.5, v57, v33
	;; [unrolled: 2-line block ×3, first 2 shown]
	v_mul_f32_e32 v57, v31, v17
	v_mul_f32_e32 v60, v30, v17
	v_mul_f32_e32 v61, v37, v19
	v_mul_f32_e32 v62, v36, v19
	v_add_f32_e32 v27, v66, v65
	v_fmac_f32_e32 v35, -0.5, v63
	v_mul_f32_e32 v63, v50, v13
	v_mul_f32_e32 v65, v49, v13
	;; [unrolled: 1-line block ×8, first 2 shown]
	v_fmamk_f32 v28, v29, 0x3f5db3d7, v24
	v_fmac_f32_e32 v24, 0xbf5db3d7, v29
	v_fmamk_f32 v29, v58, 0xbf5db3d7, v25
	v_fma_f32 v30, v30, v16, -v57
	v_fmac_f32_e32 v60, v31, v16
	v_fma_f32 v31, v36, v18, -v61
	v_fmac_f32_e32 v62, v37, v18
	v_fmac_f32_e32 v25, 0x3f5db3d7, v58
	v_fmamk_f32 v32, v64, 0x3f5db3d7, v34
	v_fmac_f32_e32 v34, 0xbf5db3d7, v64
	v_fmamk_f32 v33, v67, 0xbf5db3d7, v35
	v_fmac_f32_e32 v35, 0x3f5db3d7, v67
	v_fma_f32 v36, v49, v12, -v63
	v_fmac_f32_e32 v65, v50, v12
	v_fma_f32 v37, v38, v14, -v66
	;; [unrolled: 2-line block ×4, first 2 shown]
	v_fmac_f32_e32 v72, v54, v10
	ds_write2_b64 v99, v[22:23], v[28:29] offset1:34
	ds_write2_b64 v99, v[24:25], v[26:27] offset0:68 offset1:102
	ds_write2_b64 v99, v[32:33], v[34:35] offset0:136 offset1:170
	v_add_f32_e32 v23, v30, v31
	v_add_f32_e32 v25, v44, v60
	;; [unrolled: 1-line block ×4, first 2 shown]
	v_sub_f32_e32 v33, v30, v31
	v_add_f32_e32 v28, v36, v37
	v_add_f32_e32 v30, v65, v68
	;; [unrolled: 1-line block ×4, first 2 shown]
	v_sub_f32_e32 v32, v60, v62
	v_fma_f32 v24, -0.5, v23, v43
	v_add_f32_e32 v23, v25, v62
	v_fma_f32 v25, -0.5, v26, v44
	v_add_f32_e32 v27, v45, v36
	v_sub_f32_e32 v34, v65, v68
	v_add_f32_e32 v29, v46, v65
	v_sub_f32_e32 v35, v36, v37
	v_fma_f32 v45, -0.5, v28, v45
	v_fmac_f32_e32 v46, -0.5, v30
	v_add_f32_e32 v36, v20, v38
	v_sub_f32_e32 v50, v70, v72
	v_add_f32_e32 v51, v21, v70
	v_sub_f32_e32 v38, v38, v39
	v_fma_f32 v20, -0.5, v49, v20
	v_fmac_f32_e32 v21, -0.5, v52
	v_add_f32_e32 v22, v22, v31
	v_fmamk_f32 v30, v32, 0x3f5db3d7, v24
	v_fmamk_f32 v31, v33, 0xbf5db3d7, v25
	v_fmac_f32_e32 v24, 0xbf5db3d7, v32
	v_fmac_f32_e32 v25, 0x3f5db3d7, v33
	v_add_f32_e32 v26, v27, v37
	v_add_f32_e32 v27, v29, v68
	v_fmamk_f32 v32, v34, 0x3f5db3d7, v45
	v_fmamk_f32 v33, v35, 0xbf5db3d7, v46
	v_fmac_f32_e32 v45, 0xbf5db3d7, v34
	v_fmac_f32_e32 v46, 0x3f5db3d7, v35
	v_add_f32_e32 v28, v36, v39
	v_add_f32_e32 v29, v51, v72
	v_fmamk_f32 v34, v50, 0x3f5db3d7, v20
	v_fmamk_f32 v35, v38, 0xbf5db3d7, v21
	v_fmac_f32_e32 v20, 0xbf5db3d7, v50
	v_fmac_f32_e32 v21, 0x3f5db3d7, v38
	ds_write2_b64 v111, v[22:23], v[30:31] offset0:204 offset1:238
	ds_write_b64 v111, v[24:25] offset:2176
	ds_write2_b64 v42, v[26:27], v[32:33] offset0:50 offset1:84
	ds_write_b64 v110, v[45:46] offset:2992
	;; [unrolled: 2-line block ×3, first 2 shown]
	v_lshlrev_b64 v[22:23], 5, v[40:41]
	v_add_co_u32 v20, s1, s2, v55
	v_add_co_ci_u32_e64 v21, s1, s3, v56, s1
	s_waitcnt lgkmcnt(0)
	v_add_co_u32 v22, s1, s2, v22
	v_add_co_ci_u32_e64 v23, s1, s3, v23, s1
	s_barrier
	buffer_gl0_inv
	s_clause 0x5
	global_load_dwordx4 v[36:39], v59, s[2:3] offset:680
	global_load_dwordx4 v[40:43], v59, s[2:3] offset:696
	global_load_dwordx4 v[32:35], v[20:21], off offset:680
	global_load_dwordx4 v[24:27], v[20:21], off offset:696
	;; [unrolled: 1-line block ×4, first 2 shown]
	ds_read2_b64 v[44:47], v99 offset0:68 offset1:102
	ds_read2_b64 v[56:59], v99 offset0:204 offset1:238
	;; [unrolled: 1-line block ×6, first 2 shown]
	ds_read2_b64 v[52:55], v99 offset1:34
	ds_read_b64 v[49:50], v99 offset:3808
	v_add_nc_u32_e32 v48, 0x800, v100
	v_add_nc_u32_e32 v51, 0x400, v100
	s_waitcnt vmcnt(5) lgkmcnt(7)
	v_mul_f32_e32 v93, v47, v37
	v_mul_f32_e32 v94, v46, v37
	s_waitcnt lgkmcnt(6)
	v_mul_f32_e32 v112, v57, v39
	v_mul_f32_e32 v113, v56, v39
	s_waitcnt vmcnt(4) lgkmcnt(5)
	v_mul_f32_e32 v114, v63, v41
	v_mul_f32_e32 v115, v62, v41
	s_waitcnt lgkmcnt(4)
	v_mul_f32_e32 v116, v65, v43
	v_mul_f32_e32 v117, v64, v43
	s_waitcnt vmcnt(3) lgkmcnt(3)
	v_mul_f32_e32 v118, v69, v33
	v_mul_f32_e32 v119, v68, v33
	;; [unrolled: 1-line block ×4, first 2 shown]
	s_waitcnt vmcnt(2) lgkmcnt(2)
	v_mul_f32_e32 v122, v73, v25
	v_mul_f32_e32 v123, v72, v25
	;; [unrolled: 1-line block ×4, first 2 shown]
	s_waitcnt vmcnt(1)
	v_mul_f32_e32 v126, v71, v29
	v_mul_f32_e32 v127, v70, v29
	;; [unrolled: 1-line block ×4, first 2 shown]
	s_waitcnt vmcnt(0)
	v_mul_f32_e32 v130, v75, v21
	v_mul_f32_e32 v131, v74, v21
	s_waitcnt lgkmcnt(0)
	v_mul_f32_e32 v132, v50, v23
	v_mul_f32_e32 v133, v49, v23
	v_fma_f32 v46, v46, v36, -v93
	v_fmac_f32_e32 v94, v47, v36
	v_fma_f32 v47, v56, v38, -v112
	v_fmac_f32_e32 v113, v57, v38
	v_fma_f32 v93, v62, v40, -v114
	v_fmac_f32_e32 v115, v63, v40
	v_fma_f32 v112, v64, v42, -v116
	v_fmac_f32_e32 v117, v65, v42
	v_fma_f32 v56, v68, v32, -v118
	v_fmac_f32_e32 v119, v69, v32
	v_fma_f32 v57, v58, v34, -v120
	v_fmac_f32_e32 v121, v59, v34
	v_fma_f32 v58, v72, v24, -v122
	v_fmac_f32_e32 v123, v73, v24
	v_fma_f32 v59, v66, v26, -v124
	v_fmac_f32_e32 v125, v67, v26
	v_fma_f32 v62, v70, v28, -v126
	v_fmac_f32_e32 v127, v71, v28
	v_fma_f32 v64, v60, v30, -v128
	v_fmac_f32_e32 v129, v61, v30
	v_fma_f32 v65, v74, v20, -v130
	v_fmac_f32_e32 v131, v75, v20
	v_fma_f32 v49, v49, v22, -v132
	v_fmac_f32_e32 v133, v50, v22
	v_add_f32_e32 v50, v52, v46
	v_add_f32_e32 v60, v47, v93
	v_sub_f32_e32 v61, v46, v47
	v_sub_f32_e32 v63, v112, v93
	v_add_f32_e32 v66, v46, v112
	v_sub_f32_e32 v67, v47, v46
	v_sub_f32_e32 v70, v93, v112
	v_add_f32_e32 v71, v53, v94
	v_add_f32_e32 v72, v113, v115
	v_sub_f32_e32 v114, v46, v112
	v_sub_f32_e32 v46, v94, v113
	;; [unrolled: 1-line block ×3, first 2 shown]
	v_add_f32_e32 v74, v94, v117
	v_add_f32_e32 v118, v54, v56
	;; [unrolled: 1-line block ×13, first 2 shown]
	v_sub_f32_e32 v68, v94, v117
	v_sub_f32_e32 v69, v113, v115
	;; [unrolled: 1-line block ×17, first 2 shown]
	v_add_f32_e32 v50, v50, v47
	v_fma_f32 v62, -0.5, v60, v52
	v_add_f32_e32 v160, v61, v63
	v_fma_f32 v60, -0.5, v66, v52
	v_add_f32_e32 v161, v67, v70
	v_add_f32_e32 v52, v71, v113
	v_fma_f32 v63, -0.5, v72, v53
	v_add_f32_e32 v113, v46, v73
	v_fma_f32 v61, -0.5, v74, v53
	;; [unrolled: 2-line block ×3, first 2 shown]
	v_fma_f32 v54, -0.5, v130, v54
	v_add_f32_e32 v66, v135, v121
	v_fma_f32 v57, -0.5, v136, v55
	v_fmac_f32_e32 v55, -0.5, v141
	v_add_f32_e32 v64, v143, v64
	v_fma_f32 v46, -0.5, v144, v44
	v_fma_f32 v44, -0.5, v149, v44
	v_add_f32_e32 v67, v152, v129
	v_fma_f32 v47, -0.5, v153, v45
	v_fmac_f32_e32 v45, -0.5, v158
	v_sub_f32_e32 v128, v59, v58
	v_sub_f32_e32 v134, v58, v59
	;; [unrolled: 1-line block ×12, first 2 shown]
	v_add_f32_e32 v162, v75, v94
	v_fmamk_f32 v72, v68, 0x3f737871, v62
	v_fmac_f32_e32 v62, 0xbf737871, v68
	v_fmamk_f32 v74, v69, 0xbf737871, v60
	v_fmac_f32_e32 v60, 0x3f737871, v69
	v_add_f32_e32 v94, v52, v115
	v_fmamk_f32 v73, v114, 0xbf737871, v63
	v_fmac_f32_e32 v63, 0x3f737871, v114
	v_fmamk_f32 v75, v116, 0x3f737871, v61
	v_fmac_f32_e32 v61, 0xbf737871, v116
	;; [unrolled: 5-line block ×6, first 2 shown]
	v_add_f32_e32 v118, v126, v128
	v_add_f32_e32 v120, v132, v134
	;; [unrolled: 1-line block ×9, first 2 shown]
	v_fmac_f32_e32 v72, 0x3f167918, v69
	v_fmac_f32_e32 v62, 0xbf167918, v69
	;; [unrolled: 1-line block ×24, first 2 shown]
	v_add_f32_e32 v93, v50, v112
	v_add_f32_e32 v94, v94, v117
	;; [unrolled: 1-line block ×6, first 2 shown]
	v_fmac_f32_e32 v72, 0x3e9e377a, v160
	v_fmac_f32_e32 v62, 0x3e9e377a, v160
	;; [unrolled: 1-line block ×24, first 2 shown]
	ds_write_b64 v100, v[93:94]
	ds_write2_b64 v100, v[68:69], v[58:59] offset0:34 offset1:68
	ds_write2_b64 v100, v[72:73], v[70:71] offset0:102 offset1:136
	;; [unrolled: 1-line block ×7, first 2 shown]
	s_waitcnt lgkmcnt(0)
	s_barrier
	buffer_gl0_inv
	s_and_saveexec_b32 s8, vcc_lo
	s_cbranch_execz .LBB0_13
; %bb.12:
	s_add_u32 s2, s12, 0xff0
	s_addc_u32 s3, s13, 0
	v_add_co_u32 v51, s1, s2, v96
	s_clause 0x2
	global_load_dwordx2 v[49:50], v96, s[2:3]
	global_load_dwordx2 v[144:145], v96, s[2:3] offset:240
	global_load_dwordx2 v[146:147], v96, s[2:3] offset:480
	v_add_co_ci_u32_e64 v113, null, s3, 0, s1
	v_add_co_u32 v112, s1, 0x800, v51
	s_clause 0x3
	global_load_dwordx2 v[148:149], v96, s[2:3] offset:720
	global_load_dwordx2 v[150:151], v96, s[2:3] offset:960
	;; [unrolled: 1-line block ×4, first 2 shown]
	v_add_co_ci_u32_e64 v113, s1, 0, v113, s1
	v_or_b32_e32 v51, 0xf00, v96
	s_clause 0x9
	global_load_dwordx2 v[156:157], v96, s[2:3] offset:1680
	global_load_dwordx2 v[158:159], v96, s[2:3] offset:1920
	global_load_dwordx2 v[160:161], v[112:113], off offset:112
	global_load_dwordx2 v[162:163], v[112:113], off offset:352
	;; [unrolled: 1-line block ×7, first 2 shown]
	global_load_dwordx2 v[174:175], v51, s[2:3]
	ds_read_b64 v[112:113], v100
	s_waitcnt vmcnt(16) lgkmcnt(0)
	v_mul_f32_e32 v114, v113, v50
	v_mul_f32_e32 v51, v112, v50
	v_fma_f32 v50, v112, v49, -v114
	v_fmac_f32_e32 v51, v113, v49
	ds_write_b64 v100, v[50:51]
	ds_read2_b64 v[112:115], v100 offset0:30 offset1:60
	ds_read2_b64 v[116:119], v100 offset0:90 offset1:120
	;; [unrolled: 1-line block ×8, first 2 shown]
	s_waitcnt vmcnt(15) lgkmcnt(7)
	v_mul_f32_e32 v49, v113, v145
	v_mul_f32_e32 v50, v112, v145
	s_waitcnt vmcnt(14)
	v_mul_f32_e32 v51, v115, v147
	v_mul_f32_e32 v145, v114, v147
	s_waitcnt vmcnt(13) lgkmcnt(6)
	v_mul_f32_e32 v176, v117, v149
	v_mul_f32_e32 v147, v116, v149
	s_waitcnt vmcnt(12)
	v_mul_f32_e32 v177, v119, v151
	v_mul_f32_e32 v149, v118, v151
	;; [unrolled: 6-line block ×8, first 2 shown]
	v_fma_f32 v49, v112, v144, -v49
	v_fmac_f32_e32 v50, v113, v144
	v_fma_f32 v144, v114, v146, -v51
	v_fmac_f32_e32 v145, v115, v146
	;; [unrolled: 2-line block ×16, first 2 shown]
	ds_write2_b64 v100, v[49:50], v[144:145] offset0:30 offset1:60
	ds_write2_b64 v100, v[146:147], v[148:149] offset0:90 offset1:120
	;; [unrolled: 1-line block ×8, first 2 shown]
.LBB0_13:
	s_or_b32 exec_lo, exec_lo, s8
	s_waitcnt lgkmcnt(0)
	s_barrier
	buffer_gl0_inv
	s_and_saveexec_b32 s1, vcc_lo
	s_cbranch_execz .LBB0_15
; %bb.14:
	v_add_nc_u32_e32 v0, 0x800, v100
	ds_read_b64 v[93:94], v100
	ds_read2_b64 v[72:75], v100 offset0:30 offset1:60
	ds_read2_b64 v[60:63], v100 offset0:90 offset1:120
	;; [unrolled: 1-line block ×8, first 2 shown]
.LBB0_15:
	s_or_b32 exec_lo, exec_lo, s1
	s_waitcnt lgkmcnt(0)
	v_sub_f32_e32 v128, v73, v3
	v_add_f32_e32 v130, v3, v73
	v_add_f32_e32 v113, v2, v72
	v_sub_f32_e32 v116, v72, v2
	v_add_f32_e32 v131, v1, v75
	v_mul_f32_e32 v133, 0xbf2c7751, v128
	v_mul_f32_e32 v136, 0x3f3d2fb0, v130
	v_sub_f32_e32 v129, v75, v1
	v_add_f32_e32 v112, v0, v74
	v_mul_f32_e32 v146, 0xbf65296c, v128
	v_fma_f32 v48, 0x3f3d2fb0, v113, -v133
	v_fmamk_f32 v49, v116, 0xbf2c7751, v136
	v_mul_f32_e32 v147, 0x3ee437d1, v130
	v_mul_f32_e32 v137, 0xbf7ee86f, v129
	v_sub_f32_e32 v114, v74, v0
	v_mul_f32_e32 v140, 0x3dbcf732, v131
	v_add_f32_e32 v48, v93, v48
	v_add_f32_e32 v49, v94, v49
	v_fma_f32 v50, 0x3ee437d1, v113, -v146
	v_fmamk_f32 v51, v116, 0xbf65296c, v147
	v_fma_f32 v115, 0x3dbcf732, v112, -v137
	v_sub_f32_e32 v132, v61, v47
	v_fmamk_f32 v117, v114, 0xbf7ee86f, v140
	v_mul_f32_e32 v152, 0xbf4c4adb, v129
	v_mul_f32_e32 v154, 0xbf1a4643, v131
	v_add_f32_e32 v135, v47, v61
	v_add_f32_e32 v50, v93, v50
	;; [unrolled: 1-line block ×5, first 2 shown]
	v_mul_f32_e32 v141, 0xbf4c4adb, v132
	v_add_f32_e32 v49, v117, v49
	v_fma_f32 v118, 0xbf1a4643, v112, -v152
	v_fmamk_f32 v119, v114, 0xbf4c4adb, v154
	v_sub_f32_e32 v117, v60, v46
	v_mul_f32_e32 v144, 0xbf1a4643, v135
	v_sub_f32_e32 v134, v63, v45
	v_fma_f32 v120, 0xbf1a4643, v115, -v141
	v_add_f32_e32 v50, v118, v50
	v_add_f32_e32 v51, v119, v51
	v_fmamk_f32 v119, v117, 0xbf4c4adb, v144
	v_mul_f32_e32 v159, 0x3e3c28d5, v132
	v_mul_f32_e32 v161, 0xbf7ba420, v135
	v_add_f32_e32 v118, v44, v62
	v_mul_f32_e32 v145, 0xbe3c28d5, v134
	v_add_f32_e32 v139, v45, v63
	v_add_f32_e32 v48, v120, v48
	;; [unrolled: 1-line block ×3, first 2 shown]
	v_fma_f32 v120, 0xbf7ba420, v115, -v159
	v_fmamk_f32 v121, v117, 0x3e3c28d5, v161
	v_fma_f32 v122, 0xbf7ba420, v118, -v145
	v_sub_f32_e32 v119, v62, v44
	v_mul_f32_e32 v151, 0xbf7ba420, v139
	v_sub_f32_e32 v138, v69, v67
	v_mul_f32_e32 v163, 0x3f763a35, v134
	v_mul_f32_e32 v165, 0xbe8c1d8e, v139
	v_add_f32_e32 v143, v67, v69
	v_add_f32_e32 v50, v120, v50
	;; [unrolled: 1-line block ×4, first 2 shown]
	v_fmamk_f32 v122, v119, 0xbe3c28d5, v151
	v_add_f32_e32 v120, v66, v68
	v_mul_f32_e32 v150, 0x3f06c442, v138
	v_fma_f32 v123, 0xbe8c1d8e, v118, -v163
	v_fmamk_f32 v124, v119, 0x3f763a35, v165
	v_sub_f32_e32 v121, v68, v66
	v_mul_f32_e32 v157, 0xbf59a7d5, v143
	v_add_f32_e32 v148, v65, v71
	v_fma_f32 v125, 0xbf59a7d5, v120, -v150
	v_add_f32_e32 v49, v122, v49
	v_add_f32_e32 v50, v123, v50
	;; [unrolled: 1-line block ×3, first 2 shown]
	v_fmamk_f32 v124, v121, 0x3f06c442, v157
	v_sub_f32_e32 v142, v71, v65
	v_mul_f32_e32 v167, 0x3f2c7751, v138
	v_mul_f32_e32 v169, 0x3f3d2fb0, v143
	v_sub_f32_e32 v123, v70, v64
	v_mul_f32_e32 v160, 0xbe8c1d8e, v148
	v_add_f32_e32 v48, v125, v48
	v_add_f32_e32 v122, v64, v70
	v_mul_f32_e32 v158, 0x3f763a35, v142
	v_fma_f32 v125, 0x3f3d2fb0, v120, -v167
	v_fmamk_f32 v126, v121, 0x3f2c7751, v169
	v_add_f32_e32 v49, v124, v49
	v_fmamk_f32 v124, v123, 0x3f763a35, v160
	v_mul_f32_e32 v170, 0xbeb8f4ab, v142
	v_sub_f32_e32 v149, v53, v59
	v_fma_f32 v127, 0xbe8c1d8e, v122, -v158
	v_add_f32_e32 v50, v125, v50
	v_add_f32_e32 v51, v126, v51
	;; [unrolled: 1-line block ×4, first 2 shown]
	v_fma_f32 v126, 0x3f6eb680, v122, -v170
	v_add_f32_e32 v124, v58, v52
	v_mul_f32_e32 v162, 0x3f65296c, v149
	v_mul_f32_e32 v171, 0xbf7ee86f, v149
	v_add_f32_e32 v48, v127, v48
	v_mul_f32_e32 v172, 0x3f6eb680, v148
	v_sub_f32_e32 v125, v52, v58
	v_mul_f32_e32 v164, 0x3ee437d1, v153
	v_fma_f32 v155, 0x3ee437d1, v124, -v162
	v_add_f32_e32 v50, v126, v50
	v_fma_f32 v156, 0x3dbcf732, v124, -v171
	v_fmamk_f32 v127, v123, 0xbeb8f4ab, v172
	v_fmamk_f32 v126, v125, 0x3f65296c, v164
	v_add_f32_e32 v48, v155, v48
	v_mul_f32_e32 v173, 0x3dbcf732, v153
	v_add_f32_e32 v176, v156, v50
	v_sub_f32_e32 v155, v55, v57
	v_add_f32_e32 v156, v57, v55
	v_add_f32_e32 v51, v127, v51
	;; [unrolled: 1-line block ×3, first 2 shown]
	v_fmamk_f32 v50, v125, 0xbf7ee86f, v173
	v_add_f32_e32 v126, v56, v54
	v_sub_f32_e32 v127, v54, v56
	v_mul_f32_e32 v166, 0x3eb8f4ab, v155
	v_mul_f32_e32 v168, 0x3f6eb680, v156
	;; [unrolled: 1-line block ×4, first 2 shown]
	v_add_f32_e32 v177, v50, v51
	v_fma_f32 v50, 0x3f6eb680, v126, -v166
	v_fmamk_f32 v51, v127, 0x3eb8f4ab, v168
	v_fma_f32 v178, 0xbf59a7d5, v126, -v174
	v_fmamk_f32 v179, v127, 0xbf06c442, v175
	v_add_f32_e32 v50, v50, v48
	v_add_f32_e32 v51, v51, v49
	;; [unrolled: 1-line block ×4, first 2 shown]
	s_barrier
	buffer_gl0_inv
	s_and_saveexec_b32 s1, vcc_lo
	s_cbranch_execz .LBB0_17
; %bb.16:
	v_add_f32_e32 v72, v72, v93
	v_add_f32_e32 v73, v73, v94
	v_mul_f32_e32 v176, 0xbf7ee86f, v132
	v_mul_f32_e32 v177, 0x3f2c7751, v125
	v_mul_f32_e32 v178, 0x3f4c4adb, v134
	v_add_f32_e32 v72, v74, v72
	v_add_f32_e32 v73, v75, v73
	v_mul_f32_e32 v74, 0x3f65296c, v129
	v_mul_f32_e32 v75, 0xbe3c28d5, v123
	v_mul_f32_e32 v179, 0xbeb8f4ab, v138
	;; [unrolled: 5-line block ×13, first 2 shown]
	v_add_f32_e32 v44, v46, v44
	v_add_f32_e32 v45, v47, v45
	v_fma_f32 v46, 0x3ee437d1, v112, -v74
	v_fmamk_f32 v47, v114, 0xbeb8f4ab, v185
	v_fmac_f32_e32 v74, 0x3ee437d1, v112
	v_add_f32_e32 v0, v0, v44
	v_add_f32_e32 v1, v1, v45
	v_fma_f32 v44, 0xbf59a7d5, v112, -v59
	v_fmamk_f32 v45, v131, 0x3ee437d1, v53
	v_fma_f32 v53, 0x3ee437d1, v131, -v53
	v_add_f32_e32 v0, v2, v0
	v_fmamk_f32 v2, v130, 0xbe8c1d8e, v56
	v_add_f32_e32 v1, v3, v1
	v_fmamk_f32 v3, v131, 0xbf59a7d5, v57
	v_fmamk_f32 v191, v112, 0x3f6eb680, v190
	v_fma_f32 v56, 0xbe8c1d8e, v130, -v56
	v_add_f32_e32 v2, v94, v2
	v_mul_f32_e32 v199, 0x3dbcf732, v156
	v_fma_f32 v57, 0xbf59a7d5, v131, -v57
	v_mul_f32_e32 v200, 0x3f7ee86f, v155
	v_add_f32_e32 v56, v94, v56
	v_add_f32_e32 v2, v3, v2
	v_fma_f32 v3, 0xbe8c1d8e, v113, -v58
	v_fmac_f32_e32 v58, 0xbe8c1d8e, v113
	v_fmac_f32_e32 v59, 0xbf59a7d5, v112
	v_add_f32_e32 v56, v57, v56
	v_fma_f32 v57, 0x3f3d2fb0, v135, -v60
	v_add_f32_e32 v3, v93, v3
	v_mul_f32_e32 v203, 0x3ee437d1, v156
	v_mul_f32_e32 v204, 0x3f65296c, v155
	;; [unrolled: 1-line block ×3, first 2 shown]
	v_add_f32_e32 v56, v57, v56
	v_add_f32_e32 v3, v44, v3
	v_fmamk_f32 v44, v135, 0x3f3d2fb0, v60
	v_add_f32_e32 v57, v93, v58
	v_fma_f32 v58, 0x3ee437d1, v139, -v62
	v_mul_f32_e32 v206, 0xbe3c28d5, v129
	v_mul_f32_e32 v207, 0x3f6eb680, v139
	v_add_f32_e32 v2, v44, v2
	v_fma_f32 v44, 0x3f3d2fb0, v115, -v61
	v_add_f32_e32 v57, v59, v57
	v_fmac_f32_e32 v61, 0x3f3d2fb0, v115
	v_add_f32_e32 v56, v58, v56
	v_fma_f32 v58, 0xbf7ba420, v143, -v64
	v_add_f32_e32 v3, v44, v3
	v_fmamk_f32 v44, v139, 0x3ee437d1, v62
	v_add_f32_e32 v57, v61, v57
	v_fmamk_f32 v60, v112, 0xbf7ba420, v206
	v_add_f32_e32 v56, v58, v56
	v_fma_f32 v58, 0x3dbcf732, v148, -v66
	v_add_f32_e32 v2, v44, v2
	v_fma_f32 v44, 0x3ee437d1, v118, -v63
	v_fmac_f32_e32 v63, 0x3ee437d1, v118
	v_mul_f32_e32 v208, 0x3f763a35, v132
	v_add_f32_e32 v56, v58, v56
	v_fma_f32 v58, 0x3f6eb680, v153, -v68
	v_add_f32_e32 v3, v44, v3
	v_fmamk_f32 v44, v143, 0xbf7ba420, v64
	v_add_f32_e32 v57, v63, v57
	v_mul_f32_e32 v209, 0x3ee437d1, v143
	v_add_f32_e32 v56, v58, v56
	v_mul_f32_e32 v210, 0x3eb8f4ab, v134
	v_add_f32_e32 v2, v44, v2
	v_fma_f32 v44, 0xbf7ba420, v120, -v65
	v_fmac_f32_e32 v65, 0xbf7ba420, v120
	v_mul_f32_e32 v211, 0xbf59a7d5, v148
	v_mul_f32_e32 v212, 0xbf65296c, v138
	;; [unrolled: 1-line block ×3, first 2 shown]
	v_add_f32_e32 v3, v44, v3
	v_fmamk_f32 v44, v148, 0x3dbcf732, v66
	v_add_f32_e32 v57, v65, v57
	v_mul_f32_e32 v214, 0xbf1a4643, v153
	v_mul_f32_e32 v215, 0x3f4c4adb, v149
	;; [unrolled: 1-line block ×3, first 2 shown]
	v_add_f32_e32 v2, v44, v2
	v_fma_f32 v44, 0x3dbcf732, v122, -v67
	v_fmac_f32_e32 v67, 0x3dbcf732, v122
	v_mul_f32_e32 v217, 0x3f2c7751, v155
	v_mul_f32_e32 v61, 0xbf4c4adb, v114
	;; [unrolled: 1-line block ×3, first 2 shown]
	v_add_f32_e32 v3, v44, v3
	v_fmamk_f32 v44, v153, 0x3f6eb680, v68
	v_add_f32_e32 v57, v67, v57
	v_sub_f32_e32 v61, v154, v61
	v_sub_f32_e32 v62, v165, v62
	v_mul_f32_e32 v63, 0xbf1a4643, v112
	v_add_f32_e32 v2, v44, v2
	v_fma_f32 v44, 0x3f6eb680, v124, -v69
	v_fmac_f32_e32 v69, 0x3f6eb680, v124
	v_mul_f32_e32 v65, 0x3dbcf732, v112
	v_add_f32_e32 v63, v63, v152
	v_fma_f32 v67, 0xbf7ba420, v113, -v189
	v_add_f32_e32 v44, v44, v3
	v_fmamk_f32 v3, v156, 0xbf1a4643, v70
	v_add_f32_e32 v58, v69, v57
	v_fma_f32 v57, 0xbf1a4643, v156, -v70
	v_mul_f32_e32 v70, 0x3dbcf732, v130
	v_add_f32_e32 v65, v65, v137
	v_add_f32_e32 v3, v3, v2
	v_fma_f32 v2, 0xbf1a4643, v126, -v71
	v_fmac_f32_e32 v71, 0xbf1a4643, v126
	v_add_f32_e32 v57, v57, v56
	v_mul_f32_e32 v137, 0xbf1a4643, v148
	v_fmac_f32_e32 v185, 0x3eb8f4ab, v114
	v_add_f32_e32 v2, v2, v44
	v_fmamk_f32 v44, v130, 0xbf59a7d5, v52
	v_fma_f32 v52, 0xbf59a7d5, v130, -v52
	v_add_f32_e32 v56, v71, v58
	v_fmamk_f32 v58, v116, 0x3f7ee86f, v70
	v_mul_f32_e32 v71, 0xbf7ba420, v131
	v_add_f32_e32 v44, v94, v44
	v_add_f32_e32 v52, v94, v52
	;; [unrolled: 1-line block ×4, first 2 shown]
	v_fmamk_f32 v59, v114, 0x3e3c28d5, v71
	v_add_f32_e32 v44, v45, v44
	v_fmamk_f32 v45, v135, 0x3dbcf732, v54
	v_add_f32_e32 v52, v53, v52
	v_fma_f32 v53, 0x3dbcf732, v135, -v54
	v_fma_f32 v54, 0x3f6eb680, v143, -v72
	v_add_f32_e32 v58, v59, v58
	v_add_f32_e32 v44, v45, v44
	v_fmamk_f32 v45, v139, 0xbf1a4643, v55
	v_add_f32_e32 v52, v53, v52
	v_fma_f32 v53, 0xbf1a4643, v139, -v55
	v_fma_f32 v68, 0x3f6eb680, v112, -v190
	;; [unrolled: 1-line block ×3, first 2 shown]
	v_add_f32_e32 v44, v45, v44
	v_fmamk_f32 v45, v143, 0x3f6eb680, v72
	v_add_f32_e32 v52, v53, v52
	v_mul_f32_e32 v72, 0xbf1a4643, v130
	v_mul_f32_e32 v130, 0x3f6eb680, v130
	v_add_f32_e32 v67, v68, v67
	v_add_f32_e32 v44, v45, v44
	v_fma_f32 v45, 0xbf59a7d5, v113, -v73
	v_fmac_f32_e32 v73, 0xbf59a7d5, v113
	v_add_f32_e32 v52, v54, v52
	v_fma_f32 v54, 0xbf7ba420, v148, -v75
	v_fmac_f32_e32 v70, 0xbf7ee86f, v116
	v_add_f32_e32 v45, v93, v45
	v_add_f32_e32 v53, v93, v73
	v_mul_f32_e32 v73, 0xbe8c1d8e, v131
	v_add_f32_e32 v52, v54, v52
	v_fma_f32 v54, 0x3f3d2fb0, v153, -v177
	v_add_f32_e32 v45, v46, v45
	v_fmamk_f32 v46, v148, 0xbf7ba420, v75
	v_add_f32_e32 v53, v74, v53
	v_fmamk_f32 v55, v114, 0xbf763a35, v73
	v_add_f32_e32 v52, v54, v52
	v_mul_f32_e32 v74, 0x3f6eb680, v135
	v_add_f32_e32 v44, v46, v44
	v_fma_f32 v46, 0x3dbcf732, v115, -v176
	v_fmac_f32_e32 v176, 0x3dbcf732, v115
	v_mul_f32_e32 v75, 0xbf59a7d5, v139
	v_mul_f32_e32 v131, 0x3f3d2fb0, v131
	v_fmac_f32_e32 v73, 0x3f763a35, v114
	v_add_f32_e32 v45, v46, v45
	v_fmamk_f32 v46, v153, 0x3f3d2fb0, v177
	v_add_f32_e32 v53, v176, v53
	v_mul_f32_e32 v176, 0x3dbcf732, v143
	v_mul_f32_e32 v177, 0x3f3d2fb0, v148
	v_add_f32_e32 v70, v94, v70
	v_add_f32_e32 v44, v46, v44
	v_fma_f32 v46, 0xbf1a4643, v118, -v178
	v_fmac_f32_e32 v178, 0xbf1a4643, v118
	v_fmac_f32_e32 v71, 0xbe3c28d5, v114
	v_add_f32_e32 v45, v46, v45
	v_fma_f32 v46, 0x3f6eb680, v120, -v179
	v_add_f32_e32 v53, v178, v53
	v_fmac_f32_e32 v179, 0x3f6eb680, v120
	v_mul_f32_e32 v178, 0xbf4c4adb, v128
	v_mul_f32_e32 v128, 0xbeb8f4ab, v128
	v_add_f32_e32 v45, v46, v45
	v_fma_f32 v46, 0xbf7ba420, v122, -v180
	v_add_f32_e32 v53, v179, v53
	v_fmac_f32_e32 v180, 0xbf7ba420, v122
	v_mul_f32_e32 v179, 0x3f763a35, v129
	v_mul_f32_e32 v129, 0xbf2c7751, v129
	v_add_f32_e32 v45, v46, v45
	v_fma_f32 v46, 0x3f3d2fb0, v124, -v181
	v_add_f32_e32 v53, v180, v53
	v_fmac_f32_e32 v181, 0x3f3d2fb0, v124
	v_fmamk_f32 v180, v112, 0xbe8c1d8e, v179
	v_add_f32_e32 v70, v71, v70
	v_add_f32_e32 v46, v46, v45
	v_fmamk_f32 v45, v156, 0xbe8c1d8e, v182
	v_add_f32_e32 v54, v181, v53
	v_fma_f32 v53, 0xbe8c1d8e, v156, -v182
	v_fma_f32 v71, 0xbf7ba420, v112, -v206
	v_add_f32_e32 v45, v45, v44
	v_fma_f32 v44, 0xbe8c1d8e, v126, -v183
	v_fmac_f32_e32 v183, 0xbe8c1d8e, v126
	v_add_f32_e32 v53, v53, v52
	v_add_f32_e32 v44, v44, v46
	v_fmamk_f32 v46, v116, 0x3e3c28d5, v184
	v_add_f32_e32 v52, v183, v54
	v_fmamk_f32 v54, v116, 0x3f4c4adb, v72
	v_fmac_f32_e32 v184, 0xbe3c28d5, v116
	v_fmac_f32_e32 v72, 0xbf4c4adb, v116
	v_add_f32_e32 v46, v94, v46
	v_add_f32_e32 v54, v94, v54
	;; [unrolled: 1-line block ×3, first 2 shown]
	v_fmamk_f32 v47, v117, 0x3f06c442, v186
	v_add_f32_e32 v54, v55, v54
	v_fmamk_f32 v55, v117, 0x3eb8f4ab, v74
	v_fmac_f32_e32 v186, 0xbf06c442, v117
	v_fmac_f32_e32 v74, 0xbeb8f4ab, v117
	v_add_f32_e32 v46, v47, v46
	v_fmamk_f32 v47, v119, 0xbf2c7751, v187
	v_add_f32_e32 v54, v55, v54
	v_fmamk_f32 v55, v119, 0x3f06c442, v75
	v_fmac_f32_e32 v187, 0x3f2c7751, v119
	v_fmac_f32_e32 v75, 0xbf06c442, v119
	v_add_f32_e32 v46, v47, v46
	;; [unrolled: 6-line block ×3, first 2 shown]
	v_fmamk_f32 v47, v113, 0xbf7ba420, v189
	v_add_f32_e32 v54, v55, v54
	v_fmamk_f32 v55, v123, 0x3f2c7751, v177
	v_fmac_f32_e32 v177, 0xbf2c7751, v123
	v_add_f32_e32 v47, v93, v47
	v_add_f32_e32 v54, v55, v54
	v_fmamk_f32 v55, v113, 0xbf1a4643, v178
	v_add_f32_e32 v47, v191, v47
	v_mul_f32_e32 v191, 0x3ee437d1, v148
	v_add_f32_e32 v55, v93, v55
	v_fmamk_f32 v192, v123, 0xbf65296c, v191
	v_fmac_f32_e32 v191, 0x3f65296c, v123
	v_add_f32_e32 v55, v180, v55
	v_mul_f32_e32 v180, 0xbf7ba420, v153
	v_add_f32_e32 v46, v192, v46
	v_mul_f32_e32 v192, 0xbf06c442, v132
	v_fmamk_f32 v181, v125, 0x3e3c28d5, v180
	v_fmac_f32_e32 v180, 0xbe3c28d5, v125
	v_fmamk_f32 v193, v115, 0xbf59a7d5, v192
	v_fma_f32 v68, 0xbf59a7d5, v115, -v192
	v_add_f32_e32 v54, v181, v54
	v_mul_f32_e32 v181, 0xbeb8f4ab, v132
	v_mul_f32_e32 v132, 0xbf65296c, v132
	v_add_f32_e32 v47, v193, v47
	v_mul_f32_e32 v193, 0x3f2c7751, v134
	v_add_f32_e32 v67, v68, v67
	v_fmamk_f32 v182, v115, 0x3f6eb680, v181
	v_fmamk_f32 v194, v118, 0x3f3d2fb0, v193
	v_fma_f32 v68, 0x3f3d2fb0, v118, -v193
	v_add_f32_e32 v55, v182, v55
	v_mul_f32_e32 v182, 0xbf06c442, v134
	v_mul_f32_e32 v134, 0xbf7ee86f, v134
	v_add_f32_e32 v47, v194, v47
	v_mul_f32_e32 v194, 0xbe8c1d8e, v153
	v_add_f32_e32 v67, v68, v67
	v_fmamk_f32 v183, v118, 0xbf59a7d5, v182
	v_fmamk_f32 v195, v125, 0x3f763a35, v194
	v_fmac_f32_e32 v194, 0xbf763a35, v125
	v_add_f32_e32 v55, v183, v55
	v_mul_f32_e32 v183, 0x3f7ee86f, v138
	v_add_f32_e32 v46, v195, v46
	v_mul_f32_e32 v195, 0xbf4c4adb, v138
	v_mul_f32_e32 v138, 0xbf763a35, v138
	v_fmamk_f32 v196, v120, 0xbf1a4643, v195
	v_fma_f32 v68, 0xbf1a4643, v120, -v195
	v_add_f32_e32 v47, v196, v47
	v_mul_f32_e32 v196, 0x3f65296c, v142
	v_add_f32_e32 v67, v68, v67
	v_fmamk_f32 v197, v122, 0x3ee437d1, v196
	v_fma_f32 v68, 0x3ee437d1, v122, -v196
	v_add_f32_e32 v47, v197, v47
	v_mul_f32_e32 v197, 0xbf763a35, v149
	v_add_f32_e32 v67, v68, v67
	v_fmamk_f32 v198, v124, 0xbe8c1d8e, v197
	v_fma_f32 v68, 0xbe8c1d8e, v124, -v197
	v_add_f32_e32 v198, v198, v47
	v_fmamk_f32 v47, v127, 0xbf7ee86f, v199
	v_add_f32_e32 v68, v68, v67
	v_fmac_f32_e32 v199, 0x3f7ee86f, v127
	v_add_f32_e32 v47, v47, v46
	v_fmamk_f32 v46, v126, 0x3dbcf732, v200
	v_add_f32_e32 v46, v46, v198
	v_fmamk_f32 v198, v120, 0x3dbcf732, v183
	v_add_f32_e32 v55, v198, v55
	v_mul_f32_e32 v198, 0xbf2c7751, v142
	v_fmamk_f32 v201, v122, 0x3f3d2fb0, v198
	v_add_f32_e32 v55, v201, v55
	v_mul_f32_e32 v201, 0xbe3c28d5, v149
	v_fmamk_f32 v202, v124, 0xbf7ba420, v201
	v_add_f32_e32 v202, v202, v55
	v_fmamk_f32 v55, v127, 0xbf65296c, v203
	v_fmac_f32_e32 v203, 0x3f65296c, v127
	v_add_f32_e32 v55, v55, v54
	v_fmamk_f32 v54, v126, 0x3ee437d1, v204
	v_add_f32_e32 v54, v54, v202
	v_mul_f32_e32 v202, 0xbe8c1d8e, v135
	v_fmamk_f32 v59, v117, 0xbf763a35, v202
	v_fmac_f32_e32 v202, 0x3f763a35, v117
	v_add_f32_e32 v58, v59, v58
	v_fmamk_f32 v59, v113, 0x3dbcf732, v205
	v_add_f32_e32 v70, v202, v70
	v_add_f32_e32 v59, v93, v59
	;; [unrolled: 1-line block ×3, first 2 shown]
	v_fmamk_f32 v60, v119, 0xbeb8f4ab, v207
	v_fmac_f32_e32 v207, 0x3eb8f4ab, v119
	v_add_f32_e32 v58, v60, v58
	v_fmamk_f32 v60, v115, 0xbe8c1d8e, v208
	v_add_f32_e32 v70, v207, v70
	v_add_f32_e32 v59, v60, v59
	v_fmamk_f32 v60, v121, 0x3f65296c, v209
	v_fmac_f32_e32 v209, 0xbf65296c, v121
	v_add_f32_e32 v58, v60, v58
	v_fmamk_f32 v60, v118, 0x3f6eb680, v210
	v_add_f32_e32 v70, v209, v70
	v_add_f32_e32 v59, v60, v59
	;; [unrolled: 6-line block ×3, first 2 shown]
	v_fmamk_f32 v60, v122, 0xbf59a7d5, v213
	v_add_f32_e32 v59, v60, v59
	v_fmamk_f32 v60, v125, 0xbf4c4adb, v214
	v_fmac_f32_e32 v214, 0x3f4c4adb, v125
	v_add_f32_e32 v58, v60, v58
	v_fmamk_f32 v60, v124, 0xbf1a4643, v215
	v_add_f32_e32 v70, v214, v70
	v_add_f32_e32 v60, v60, v59
	v_fmamk_f32 v59, v127, 0xbf2c7751, v216
	v_fmac_f32_e32 v216, 0x3f2c7751, v127
	v_add_f32_e32 v59, v59, v58
	v_fmamk_f32 v58, v126, 0x3f3d2fb0, v217
	v_add_f32_e32 v58, v58, v60
	v_mul_f32_e32 v60, 0xbf65296c, v116
	v_sub_f32_e32 v60, v147, v60
	v_add_f32_e32 v60, v94, v60
	v_add_f32_e32 v60, v61, v60
	v_mul_f32_e32 v61, 0x3e3c28d5, v117
	v_sub_f32_e32 v61, v161, v61
	v_add_f32_e32 v60, v61, v60
	v_mul_f32_e32 v61, 0x3ee437d1, v113
	v_add_f32_e32 v60, v62, v60
	v_add_f32_e32 v61, v61, v146
	v_mul_f32_e32 v62, 0xbf7ba420, v115
	v_add_f32_e32 v61, v93, v61
	v_add_f32_e32 v62, v62, v159
	;; [unrolled: 1-line block ×3, first 2 shown]
	v_mul_f32_e32 v63, 0x3f2c7751, v121
	v_add_f32_e32 v61, v62, v61
	v_mul_f32_e32 v62, 0xbe8c1d8e, v118
	v_sub_f32_e32 v63, v169, v63
	v_add_f32_e32 v62, v62, v163
	v_add_f32_e32 v60, v63, v60
	v_mul_f32_e32 v63, 0xbeb8f4ab, v123
	v_add_f32_e32 v61, v62, v61
	v_mul_f32_e32 v62, 0x3f3d2fb0, v120
	v_sub_f32_e32 v63, v172, v63
	v_add_f32_e32 v62, v62, v167
	v_add_f32_e32 v60, v63, v60
	;; [unrolled: 6-line block ×4, first 2 shown]
	v_mul_f32_e32 v61, 0xbf59a7d5, v126
	v_add_f32_e32 v64, v61, v174
	v_add_f32_e32 v61, v63, v60
	v_mul_f32_e32 v63, 0xbf7ee86f, v114
	v_add_f32_e32 v60, v64, v62
	v_mul_f32_e32 v62, 0xbf2c7751, v116
	v_sub_f32_e32 v63, v140, v63
	v_mul_f32_e32 v64, 0x3f3d2fb0, v113
	v_mul_f32_e32 v140, 0xbf4c4adb, v142
	;; [unrolled: 1-line block ×3, first 2 shown]
	v_sub_f32_e32 v62, v136, v62
	v_mul_f32_e32 v136, 0xbe8c1d8e, v143
	v_add_f32_e32 v64, v64, v133
	v_mul_f32_e32 v133, 0x3ee437d1, v135
	v_mul_f32_e32 v135, 0x3dbcf732, v139
	v_add_f32_e32 v62, v94, v62
	v_mul_f32_e32 v139, 0xbf59a7d5, v153
	;; [unrolled: 3-line block ×3, first 2 shown]
	v_sub_f32_e32 v63, v144, v63
	v_add_f32_e32 v62, v63, v62
	v_mul_f32_e32 v63, 0xbe3c28d5, v119
	v_sub_f32_e32 v63, v151, v63
	v_add_f32_e32 v62, v63, v62
	v_mul_f32_e32 v63, 0x3f06c442, v121
	v_sub_f32_e32 v63, v157, v63
	v_add_f32_e32 v62, v63, v62
	v_add_f32_e32 v63, v93, v64
	v_mul_f32_e32 v64, 0xbf1a4643, v115
	v_add_f32_e32 v63, v65, v63
	v_add_f32_e32 v64, v64, v141
	v_mul_f32_e32 v65, 0x3f763a35, v123
	v_mul_f32_e32 v141, 0xbf06c442, v149
	v_add_f32_e32 v63, v64, v63
	v_mul_f32_e32 v64, 0xbf7ba420, v118
	v_sub_f32_e32 v65, v160, v65
	v_add_f32_e32 v64, v64, v145
	v_add_f32_e32 v62, v65, v62
	v_mul_f32_e32 v65, 0x3f65296c, v125
	v_add_f32_e32 v63, v64, v63
	v_mul_f32_e32 v64, 0xbf59a7d5, v120
	v_sub_f32_e32 v65, v164, v65
	v_add_f32_e32 v64, v64, v150
	v_add_f32_e32 v62, v65, v62
	;; [unrolled: 6-line block ×3, first 2 shown]
	v_mul_f32_e32 v64, 0x3ee437d1, v124
	v_add_f32_e32 v64, v64, v162
	v_add_f32_e32 v64, v64, v63
	v_mul_f32_e32 v63, 0x3f6eb680, v126
	v_add_f32_e32 v66, v63, v166
	v_add_f32_e32 v63, v65, v62
	v_fmamk_f32 v65, v114, 0x3f2c7751, v131
	v_fmac_f32_e32 v131, 0xbf2c7751, v114
	v_add_f32_e32 v62, v66, v64
	v_fmamk_f32 v64, v116, 0x3eb8f4ab, v130
	v_fmamk_f32 v66, v112, 0x3f3d2fb0, v129
	v_fmac_f32_e32 v130, 0xbeb8f4ab, v116
	v_add_f32_e32 v64, v94, v64
	v_add_f32_e32 v64, v65, v64
	v_fmamk_f32 v65, v117, 0x3f65296c, v133
	v_fmac_f32_e32 v133, 0xbf65296c, v117
	v_add_f32_e32 v64, v65, v64
	v_fmamk_f32 v65, v119, 0x3f7ee86f, v135
	v_fmac_f32_e32 v135, 0xbf7ee86f, v119
	;; [unrolled: 3-line block ×4, first 2 shown]
	v_add_f32_e32 v64, v65, v64
	v_fmamk_f32 v65, v113, 0x3f6eb680, v128
	v_add_f32_e32 v65, v93, v65
	v_add_f32_e32 v65, v66, v65
	v_fmamk_f32 v66, v125, 0x3f06c442, v139
	v_fmac_f32_e32 v139, 0xbf06c442, v125
	v_add_f32_e32 v64, v66, v64
	v_fmamk_f32 v66, v115, 0x3ee437d1, v132
	v_add_f32_e32 v65, v66, v65
	v_fmamk_f32 v66, v118, 0x3dbcf732, v134
	;; [unrolled: 2-line block ×6, first 2 shown]
	v_fmac_f32_e32 v142, 0xbe3c28d5, v127
	v_add_f32_e32 v65, v65, v64
	v_fmamk_f32 v64, v126, 0xbf7ba420, v143
	v_add_f32_e32 v64, v64, v66
	v_add_f32_e32 v66, v94, v184
	;; [unrolled: 1-line block ×10, first 2 shown]
	v_fma_f32 v69, 0xbf1a4643, v113, -v178
	v_add_f32_e32 v68, v94, v72
	v_fma_f32 v72, 0xbe8c1d8e, v112, -v179
	v_add_f32_e32 v69, v93, v69
	v_add_f32_e32 v68, v73, v68
	v_fma_f32 v73, 0x3ee437d1, v126, -v204
	v_add_f32_e32 v69, v72, v69
	v_fma_f32 v72, 0x3f6eb680, v115, -v181
	v_add_f32_e32 v68, v74, v68
	v_add_f32_e32 v74, v94, v130
	;; [unrolled: 1-line block ×3, first 2 shown]
	v_fma_f32 v72, 0xbf59a7d5, v118, -v182
	v_add_f32_e32 v68, v75, v68
	v_fma_f32 v75, 0x3f6eb680, v118, -v210
	v_add_f32_e32 v74, v131, v74
	v_add_f32_e32 v69, v72, v69
	v_fma_f32 v72, 0x3dbcf732, v120, -v183
	v_add_f32_e32 v68, v176, v68
	v_add_f32_e32 v74, v133, v74
	v_add_f32_e32 v69, v72, v69
	v_fma_f32 v72, 0x3f3d2fb0, v122, -v198
	v_add_f32_e32 v68, v177, v68
	;; [unrolled: 4-line block ×3, first 2 shown]
	v_add_f32_e32 v74, v136, v74
	v_add_f32_e32 v72, v72, v69
	;; [unrolled: 1-line block ×4, first 2 shown]
	v_fma_f32 v72, 0x3dbcf732, v113, -v205
	v_fma_f32 v73, 0x3f6eb680, v113, -v128
	v_add_f32_e32 v72, v93, v72
	v_add_f32_e32 v73, v93, v73
	v_fma_f32 v93, 0x3f3d2fb0, v126, -v217
	v_add_f32_e32 v71, v71, v72
	v_fma_f32 v72, 0xbe8c1d8e, v115, -v208
	;; [unrolled: 2-line block ×3, first 2 shown]
	v_fma_f32 v112, 0xbf7ba420, v126, -v143
	v_add_f32_e32 v71, v75, v71
	v_add_f32_e32 v72, v72, v73
	v_fma_f32 v73, 0x3ee437d1, v115, -v132
	v_fma_f32 v75, 0x3ee437d1, v120, -v212
	v_add_f32_e32 v72, v73, v72
	v_add_f32_e32 v71, v75, v71
	v_fma_f32 v73, 0xbf59a7d5, v122, -v213
	;; [unrolled: 4-line block ×3, first 2 shown]
	v_fma_f32 v75, 0xbf1a4643, v124, -v215
	v_add_f32_e32 v72, v73, v72
	v_fma_f32 v73, 0xbf1a4643, v122, -v140
	v_add_f32_e32 v75, v75, v71
	v_add_f32_e32 v71, v137, v74
	v_mul_lo_u16 v74, v97, 17
	v_add_f32_e32 v72, v73, v72
	v_fma_f32 v73, 0xbf59a7d5, v124, -v141
	v_add_f32_e32 v94, v139, v71
	v_and_b32_e32 v74, 0xffff, v74
	v_add_f32_e32 v71, v216, v70
	v_add_f32_e32 v70, v93, v75
	;; [unrolled: 1-line block ×4, first 2 shown]
	v_lshl_add_u32 v74, v74, 3, v98
	v_add_f32_e32 v72, v112, v72
	ds_write2_b64 v74, v[0:1], v[64:65] offset1:1
	ds_write2_b64 v74, v[62:63], v[60:61] offset0:2 offset1:3
	ds_write2_b64 v74, v[58:59], v[56:57] offset0:4 offset1:5
	;; [unrolled: 1-line block ×7, first 2 shown]
	ds_write_b64 v74, v[72:73] offset:128
.LBB0_17:
	s_or_b32 exec_lo, exec_lo, s1
	v_add_nc_u32_e32 v60, 0x800, v99
	s_waitcnt lgkmcnt(0)
	s_barrier
	buffer_gl0_inv
	ds_read2_b64 v[56:59], v99 offset1:34
	ds_read2_b64 v[0:3], v99 offset0:204 offset1:255
	ds_read2_b64 v[68:71], v60 offset0:33 offset1:67
	;; [unrolled: 1-line block ×6, first 2 shown]
	s_and_saveexec_b32 s1, s0
	s_cbranch_execz .LBB0_19
; %bb.18:
	v_add_nc_u32_e32 v48, 0x770, v99
	ds_read2_b64 v[48:51], v48 offset1:255
.LBB0_19:
	s_or_b32 exec_lo, exec_lo, s1
	s_waitcnt lgkmcnt(5)
	v_mul_f32_e32 v74, v90, v3
	v_mul_f32_e32 v75, v90, v2
	s_waitcnt lgkmcnt(4)
	v_mul_f32_e32 v90, v92, v69
	v_add_nc_u32_e32 v72, 0x110, v100
	v_add_nc_u32_e32 v73, 0x220, v100
	v_fmac_f32_e32 v74, v89, v2
	v_mul_f32_e32 v2, v92, v68
	v_fma_f32 v3, v89, v3, -v75
	v_fmac_f32_e32 v90, v91, v68
	v_mul_f32_e32 v68, v88, v71
	v_mul_f32_e32 v75, v88, v70
	s_waitcnt lgkmcnt(2)
	v_mul_f32_e32 v88, v86, v65
	v_fma_f32 v69, v91, v69, -v2
	v_mul_f32_e32 v2, v86, v64
	v_fmac_f32_e32 v68, v87, v70
	v_fma_f32 v70, v87, v71, -v75
	v_fmac_f32_e32 v88, v85, v64
	v_mul_f32_e32 v71, v82, v67
	v_fma_f32 v65, v85, v65, -v2
	v_mul_f32_e32 v2, v82, v66
	s_waitcnt lgkmcnt(0)
	v_mul_f32_e32 v64, v84, v60
	v_mul_f32_e32 v75, v84, v61
	v_fmac_f32_e32 v71, v81, v66
	v_mul_f32_e32 v82, v80, v63
	v_fma_f32 v67, v81, v67, -v2
	v_fma_f32 v81, v83, v61, -v64
	v_mul_f32_e32 v61, v80, v62
	v_fmac_f32_e32 v75, v83, v60
	v_fmac_f32_e32 v82, v79, v62
	v_sub_f32_e32 v2, v56, v74
	v_sub_f32_e32 v3, v57, v3
	v_fma_f32 v74, v79, v63, -v61
	v_sub_f32_e32 v60, v58, v90
	v_sub_f32_e32 v61, v59, v69
	;; [unrolled: 1-line block ×8, first 2 shown]
	v_fma_f32 v56, v56, 2.0, -v2
	v_fma_f32 v57, v57, 2.0, -v3
	v_sub_f32_e32 v68, v46, v75
	v_sub_f32_e32 v69, v47, v81
	;; [unrolled: 1-line block ×4, first 2 shown]
	v_fma_f32 v58, v58, 2.0, -v60
	v_fma_f32 v59, v59, 2.0, -v61
	v_fma_f32 v52, v52, 2.0, -v62
	v_fma_f32 v53, v53, 2.0, -v63
	v_fma_f32 v54, v54, 2.0, -v64
	v_fma_f32 v55, v55, 2.0, -v65
	v_fma_f32 v44, v44, 2.0, -v66
	v_fma_f32 v45, v45, 2.0, -v67
	v_fma_f32 v46, v46, 2.0, -v68
	v_fma_f32 v47, v47, 2.0, -v69
	v_fma_f32 v0, v0, 2.0, -v70
	v_fma_f32 v1, v1, 2.0, -v71
	s_barrier
	buffer_gl0_inv
	ds_write2_b64 v102, v[56:57], v[2:3] offset1:17
	ds_write2_b64 v108, v[58:59], v[60:61] offset1:17
	;; [unrolled: 1-line block ×7, first 2 shown]
	s_and_saveexec_b32 s1, s0
	s_cbranch_execz .LBB0_21
; %bb.20:
	v_mul_f32_e32 v0, v78, v50
	v_mul_f32_e32 v2, v78, v51
	v_lshl_add_u32 v44, v101, 3, v98
	v_fma_f32 v0, v77, v51, -v0
	v_fmac_f32_e32 v2, v77, v50
	v_add_nc_u32_e32 v44, 0x800, v44
	v_sub_f32_e32 v1, v49, v0
	v_sub_f32_e32 v0, v48, v2
	v_fma_f32 v3, v49, 2.0, -v1
	v_fma_f32 v2, v48, 2.0, -v0
	ds_write2_b64 v44, v[2:3], v[0:1] offset0:220 offset1:237
.LBB0_21:
	s_or_b32 exec_lo, exec_lo, s1
	s_waitcnt lgkmcnt(0)
	s_barrier
	buffer_gl0_inv
	ds_read2_b64 v[0:3], v99 offset0:136 offset1:170
	ds_read2_b64 v[44:47], v99 offset0:204 offset1:238
	v_add_nc_u32_e32 v70, 0x800, v99
	ds_read2_b64 v[48:51], v70 offset0:84 offset1:118
	ds_read2_b64 v[52:55], v70 offset0:152 offset1:186
	ds_read2_b64 v[56:59], v99 offset1:34
	ds_read2_b64 v[60:63], v99 offset0:68 offset1:102
	ds_read_b64 v[68:69], v99 offset:3808
	ds_read2_b64 v[64:67], v70 offset0:16 offset1:50
	s_waitcnt lgkmcnt(0)
	s_barrier
	buffer_gl0_inv
	v_mul_f32_e32 v71, v5, v3
	v_mul_f32_e32 v74, v5, v2
	;; [unrolled: 1-line block ×5, first 2 shown]
	v_fmac_f32_e32 v71, v4, v2
	v_fma_f32 v3, v4, v3, -v74
	v_mul_f32_e32 v74, v7, v49
	v_mul_f32_e32 v2, v7, v48
	v_fmac_f32_e32 v75, v4, v44
	v_fma_f32 v44, v4, v45, -v5
	v_mul_f32_e32 v4, v7, v50
	v_mul_f32_e32 v17, v17, v46
	v_fmac_f32_e32 v74, v6, v48
	v_fma_f32 v5, v6, v49, -v2
	v_mul_f32_e32 v2, v19, v52
	v_fma_f32 v48, v6, v51, -v4
	v_mul_f32_e32 v4, v13, v64
	v_mul_f32_e32 v45, v7, v51
	;; [unrolled: 1-line block ×3, first 2 shown]
	v_fmac_f32_e32 v77, v16, v46
	v_fma_f32 v16, v16, v47, -v17
	v_fma_f32 v17, v18, v53, -v2
	v_mul_f32_e32 v2, v15, v54
	v_fma_f32 v47, v12, v65, -v4
	v_mul_f32_e32 v4, v9, v66
	v_fmac_f32_e32 v45, v6, v50
	v_fmac_f32_e32 v78, v18, v52
	v_mul_f32_e32 v49, v9, v67
	v_fma_f32 v50, v14, v55, -v2
	v_mul_f32_e32 v51, v11, v69
	v_mul_f32_e32 v2, v11, v68
	v_fma_f32 v52, v8, v67, -v4
	v_add_f32_e32 v4, v71, v74
	v_add_f32_e32 v7, v3, v5
	v_fmac_f32_e32 v49, v8, v66
	v_fmac_f32_e32 v51, v10, v68
	v_add_f32_e32 v6, v56, v71
	v_fma_f32 v53, v10, v69, -v2
	v_fma_f32 v2, -0.5, v4, v56
	v_sub_f32_e32 v8, v3, v5
	v_add_f32_e32 v9, v57, v3
	v_fma_f32 v3, -0.5, v7, v57
	v_sub_f32_e32 v10, v71, v74
	v_mul_f32_e32 v19, v13, v65
	v_add_f32_e32 v4, v6, v74
	v_fmamk_f32 v6, v8, 0xbf5db3d7, v2
	v_fmac_f32_e32 v2, 0x3f5db3d7, v8
	v_add_f32_e32 v5, v9, v5
	v_add_f32_e32 v8, v75, v45
	v_fmamk_f32 v7, v10, 0x3f5db3d7, v3
	v_add_f32_e32 v9, v58, v75
	v_fmac_f32_e32 v3, 0xbf5db3d7, v10
	v_add_f32_e32 v10, v44, v48
	v_mul_f32_e32 v46, v15, v55
	v_fmac_f32_e32 v19, v12, v64
	v_fma_f32 v58, -0.5, v8, v58
	v_sub_f32_e32 v11, v44, v48
	v_add_f32_e32 v8, v9, v45
	v_add_f32_e32 v9, v59, v44
	v_fmac_f32_e32 v59, -0.5, v10
	v_sub_f32_e32 v12, v75, v45
	v_add_f32_e32 v13, v77, v78
	v_add_f32_e32 v15, v16, v17
	v_fmac_f32_e32 v46, v14, v54
	v_fmamk_f32 v10, v11, 0xbf5db3d7, v58
	v_fmac_f32_e32 v58, 0x3f5db3d7, v11
	v_fmamk_f32 v11, v12, 0x3f5db3d7, v59
	v_fmac_f32_e32 v59, 0xbf5db3d7, v12
	v_fma_f32 v12, -0.5, v13, v60
	v_sub_f32_e32 v18, v16, v17
	v_add_f32_e32 v44, v61, v16
	v_fma_f32 v13, -0.5, v15, v61
	v_sub_f32_e32 v45, v77, v78
	v_add_f32_e32 v9, v9, v48
	v_fmamk_f32 v16, v18, 0xbf5db3d7, v12
	v_fmac_f32_e32 v12, 0x3f5db3d7, v18
	v_add_f32_e32 v15, v44, v17
	v_add_f32_e32 v18, v19, v46
	v_fmamk_f32 v17, v45, 0x3f5db3d7, v13
	v_add_f32_e32 v44, v62, v19
	v_fmac_f32_e32 v13, 0xbf5db3d7, v45
	v_add_f32_e32 v45, v47, v50
	v_fma_f32 v62, -0.5, v18, v62
	v_sub_f32_e32 v48, v47, v50
	v_add_f32_e32 v18, v44, v46
	v_add_f32_e32 v47, v63, v47
	v_fmac_f32_e32 v63, -0.5, v45
	v_sub_f32_e32 v46, v19, v46
	v_add_f32_e32 v14, v60, v77
	v_fmamk_f32 v44, v48, 0xbf5db3d7, v62
	v_add_f32_e32 v19, v47, v50
	v_add_f32_e32 v47, v49, v51
	v_fmamk_f32 v45, v46, 0x3f5db3d7, v63
	v_fmac_f32_e32 v63, 0xbf5db3d7, v46
	v_add_f32_e32 v46, v52, v53
	v_fmac_f32_e32 v62, 0x3f5db3d7, v48
	v_add_f32_e32 v48, v0, v49
	v_fma_f32 v0, -0.5, v47, v0
	v_sub_f32_e32 v47, v52, v53
	v_add_f32_e32 v50, v1, v52
	v_fmac_f32_e32 v1, -0.5, v46
	v_sub_f32_e32 v52, v49, v51
	v_add_f32_e32 v14, v14, v78
	ds_write2_b64 v99, v[4:5], v[6:7] offset1:34
	ds_write2_b64 v99, v[2:3], v[8:9] offset0:68 offset1:102
	v_add_nc_u32_e32 v2, 0x800, v110
	v_add_f32_e32 v46, v48, v51
	v_fmamk_f32 v48, v47, 0xbf5db3d7, v0
	v_fmac_f32_e32 v0, 0x3f5db3d7, v47
	v_add_f32_e32 v47, v50, v53
	v_fmamk_f32 v49, v52, 0x3f5db3d7, v1
	v_fmac_f32_e32 v1, 0xbf5db3d7, v52
	v_add_nc_u32_e32 v3, 0x800, v109
	ds_write2_b64 v99, v[10:11], v[58:59] offset0:136 offset1:170
	ds_write2_b64 v111, v[14:15], v[16:17] offset0:204 offset1:238
	ds_write_b64 v111, v[12:13] offset:2176
	ds_write2_b64 v2, v[18:19], v[44:45] offset0:50 offset1:84
	ds_write_b64 v110, v[62:63] offset:2992
	;; [unrolled: 2-line block ×3, first 2 shown]
	s_waitcnt lgkmcnt(0)
	s_barrier
	buffer_gl0_inv
	ds_read2_b64 v[1:4], v99 offset0:68 offset1:102
	ds_read2_b64 v[5:8], v99 offset0:204 offset1:238
	ds_read2_b64 v[9:12], v70 offset0:16 offset1:50
	ds_read2_b64 v[13:16], v70 offset0:152 offset1:186
	ds_read2_b64 v[44:47], v99 offset0:136 offset1:170
	ds_read2_b64 v[48:51], v99 offset1:34
	ds_read2_b64 v[52:55], v70 offset0:84 offset1:118
	ds_read_b64 v[17:18], v99 offset:3808
	s_waitcnt lgkmcnt(7)
	v_mul_f32_e32 v0, v37, v4
	v_mul_f32_e32 v19, v37, v3
	s_waitcnt lgkmcnt(6)
	v_mul_f32_e32 v37, v39, v6
	v_mul_f32_e32 v39, v39, v5
	s_waitcnt lgkmcnt(5)
	v_mul_f32_e32 v56, v41, v12
	v_fmac_f32_e32 v0, v36, v3
	v_fma_f32 v19, v36, v4, -v19
	v_mul_f32_e32 v3, v41, v11
	v_fma_f32 v36, v38, v6, -v39
	s_waitcnt lgkmcnt(4)
	v_mul_f32_e32 v6, v43, v14
	v_mul_f32_e32 v4, v43, v13
	v_fmac_f32_e32 v37, v38, v5
	s_waitcnt lgkmcnt(3)
	v_mul_f32_e32 v38, v33, v45
	v_mul_f32_e32 v5, v33, v44
	v_fma_f32 v33, v40, v12, -v3
	v_fmac_f32_e32 v6, v42, v13
	v_fma_f32 v13, v42, v14, -v4
	v_mul_f32_e32 v39, v35, v8
	v_mul_f32_e32 v3, v35, v7
	s_waitcnt lgkmcnt(1)
	v_mul_f32_e32 v35, v25, v53
	v_mul_f32_e32 v4, v25, v52
	v_fmac_f32_e32 v56, v40, v11
	v_fmac_f32_e32 v38, v32, v44
	v_fma_f32 v32, v32, v45, -v5
	v_mul_f32_e32 v25, v27, v16
	v_fmac_f32_e32 v39, v34, v7
	v_fma_f32 v34, v34, v8, -v3
	v_fmac_f32_e32 v35, v24, v52
	v_fma_f32 v24, v24, v53, -v4
	v_mul_f32_e32 v3, v27, v15
	v_mul_f32_e32 v40, v29, v47
	;; [unrolled: 1-line block ×5, first 2 shown]
	v_fmac_f32_e32 v25, v26, v15
	v_fma_f32 v26, v26, v16, -v3
	v_fma_f32 v31, v28, v47, -v4
	v_fmac_f32_e32 v29, v30, v9
	v_fma_f32 v30, v30, v10, -v5
	v_add_f32_e32 v3, v37, v56
	v_mul_f32_e32 v4, v21, v54
	v_add_f32_e32 v5, v48, v0
	v_sub_f32_e32 v8, v19, v13
	v_sub_f32_e32 v7, v0, v37
	v_fma_f32 v3, -0.5, v3, v48
	v_fma_f32 v42, v20, v55, -v4
	v_add_f32_e32 v4, v5, v37
	v_sub_f32_e32 v9, v6, v56
	v_add_f32_e32 v11, v0, v6
	v_fmamk_f32 v5, v8, 0xbf737871, v3
	v_sub_f32_e32 v10, v36, v33
	s_waitcnt lgkmcnt(0)
	v_mul_f32_e32 v12, v23, v17
	v_add_f32_e32 v4, v4, v56
	v_add_f32_e32 v14, v7, v9
	v_fma_f32 v7, -0.5, v11, v48
	v_fmac_f32_e32 v3, 0x3f737871, v8
	v_add_f32_e32 v15, v49, v19
	v_fmac_f32_e32 v5, 0xbf167918, v10
	v_fma_f32 v43, v22, v18, -v12
	v_add_f32_e32 v9, v4, v6
	v_fmamk_f32 v11, v10, 0x3f737871, v7
	v_sub_f32_e32 v4, v37, v0
	v_sub_f32_e32 v12, v56, v6
	v_fmac_f32_e32 v3, 0x3f167918, v10
	v_add_f32_e32 v16, v36, v33
	v_fmac_f32_e32 v7, 0xbf737871, v10
	v_add_f32_e32 v10, v15, v36
	v_mul_f32_e32 v41, v23, v18
	v_fmac_f32_e32 v11, 0xbf167918, v8
	v_add_f32_e32 v12, v4, v12
	v_fma_f32 v4, -0.5, v16, v49
	v_sub_f32_e32 v0, v0, v6
	v_fmac_f32_e32 v7, 0x3f167918, v8
	v_add_f32_e32 v10, v10, v33
	v_add_f32_e32 v8, v19, v13
	v_sub_f32_e32 v15, v19, v36
	v_sub_f32_e32 v16, v13, v33
	v_fmac_f32_e32 v40, v28, v46
	v_mul_f32_e32 v28, v21, v55
	v_fmac_f32_e32 v41, v22, v17
	v_fmac_f32_e32 v5, 0x3e9e377a, v14
	;; [unrolled: 1-line block ×3, first 2 shown]
	v_fmamk_f32 v6, v0, 0x3f737871, v4
	v_sub_f32_e32 v14, v37, v56
	v_fma_f32 v8, -0.5, v8, v49
	v_add_f32_e32 v10, v10, v13
	v_add_f32_e32 v15, v15, v16
	v_fmac_f32_e32 v4, 0xbf737871, v0
	v_sub_f32_e32 v16, v36, v19
	v_sub_f32_e32 v13, v33, v13
	v_add_f32_e32 v17, v39, v35
	v_add_f32_e32 v18, v50, v38
	v_fmac_f32_e32 v28, v20, v54
	v_fmac_f32_e32 v11, 0x3e9e377a, v12
	;; [unrolled: 1-line block ×4, first 2 shown]
	v_fmamk_f32 v12, v14, 0xbf737871, v8
	v_fmac_f32_e32 v4, 0xbf167918, v14
	v_add_f32_e32 v16, v16, v13
	v_fma_f32 v13, -0.5, v17, v50
	v_sub_f32_e32 v20, v32, v26
	v_fmac_f32_e32 v8, 0x3f737871, v14
	v_add_f32_e32 v14, v18, v39
	v_add_f32_e32 v21, v38, v25
	v_fmac_f32_e32 v6, 0x3e9e377a, v15
	v_fmac_f32_e32 v12, 0x3f167918, v0
	;; [unrolled: 1-line block ×3, first 2 shown]
	v_fmamk_f32 v15, v20, 0xbf737871, v13
	v_sub_f32_e32 v18, v34, v24
	v_sub_f32_e32 v17, v38, v39
	;; [unrolled: 1-line block ×3, first 2 shown]
	v_fmac_f32_e32 v8, 0xbf167918, v0
	v_add_f32_e32 v0, v14, v35
	v_fma_f32 v50, -0.5, v21, v50
	v_fmac_f32_e32 v13, 0x3f737871, v20
	v_fmac_f32_e32 v12, 0x3e9e377a, v16
	;; [unrolled: 1-line block ×3, first 2 shown]
	v_add_f32_e32 v22, v17, v19
	v_fmac_f32_e32 v8, 0x3e9e377a, v16
	v_add_f32_e32 v17, v0, v25
	v_fmamk_f32 v19, v18, 0x3f737871, v50
	v_sub_f32_e32 v0, v39, v38
	v_sub_f32_e32 v14, v35, v25
	v_fmac_f32_e32 v13, 0x3f167918, v18
	v_add_f32_e32 v16, v51, v32
	v_add_f32_e32 v21, v34, v24
	v_fmac_f32_e32 v50, 0xbf737871, v18
	v_fmac_f32_e32 v15, 0x3e9e377a, v22
	;; [unrolled: 1-line block ×3, first 2 shown]
	v_add_f32_e32 v0, v0, v14
	v_add_f32_e32 v16, v16, v34
	v_fma_f32 v14, -0.5, v21, v51
	v_sub_f32_e32 v23, v38, v25
	v_fmac_f32_e32 v13, 0x3e9e377a, v22
	v_fmac_f32_e32 v50, 0x3f167918, v20
	v_add_f32_e32 v20, v32, v26
	v_sub_f32_e32 v22, v32, v34
	v_sub_f32_e32 v25, v26, v24
	v_fmac_f32_e32 v19, 0x3e9e377a, v0
	v_add_f32_e32 v18, v16, v24
	v_fmamk_f32 v16, v23, 0x3f737871, v14
	v_sub_f32_e32 v21, v39, v35
	v_fmac_f32_e32 v50, 0x3e9e377a, v0
	v_fmac_f32_e32 v51, -0.5, v20
	v_add_f32_e32 v0, v22, v25
	v_fmac_f32_e32 v14, 0xbf737871, v23
	v_sub_f32_e32 v22, v34, v32
	v_sub_f32_e32 v24, v24, v26
	v_add_f32_e32 v25, v29, v28
	v_add_f32_e32 v18, v18, v26
	v_fmac_f32_e32 v16, 0x3f167918, v21
	v_fmamk_f32 v20, v21, 0xbf737871, v51
	v_fmac_f32_e32 v14, 0xbf167918, v21
	v_add_f32_e32 v22, v22, v24
	v_fmac_f32_e32 v51, 0x3f737871, v21
	v_add_f32_e32 v24, v1, v40
	v_fma_f32 v21, -0.5, v25, v1
	v_sub_f32_e32 v26, v31, v43
	v_fmac_f32_e32 v16, 0x3e9e377a, v0
	v_fmac_f32_e32 v20, 0x3f167918, v23
	;; [unrolled: 1-line block ×4, first 2 shown]
	v_add_f32_e32 v0, v24, v29
	v_fmamk_f32 v23, v26, 0xbf737871, v21
	v_sub_f32_e32 v24, v30, v42
	v_sub_f32_e32 v25, v40, v29
	;; [unrolled: 1-line block ×3, first 2 shown]
	v_fmac_f32_e32 v21, 0x3f737871, v26
	v_add_f32_e32 v32, v40, v41
	v_add_f32_e32 v0, v0, v28
	v_fmac_f32_e32 v23, 0xbf167918, v24
	v_add_f32_e32 v27, v25, v27
	v_fmac_f32_e32 v21, 0x3f167918, v24
	v_fma_f32 v1, -0.5, v32, v1
	v_sub_f32_e32 v32, v29, v40
	v_sub_f32_e32 v33, v28, v41
	v_add_f32_e32 v25, v0, v41
	v_fmac_f32_e32 v23, 0x3e9e377a, v27
	v_fmac_f32_e32 v21, 0x3e9e377a, v27
	v_fmamk_f32 v27, v24, 0x3f737871, v1
	v_add_f32_e32 v0, v30, v42
	v_fmac_f32_e32 v1, 0xbf737871, v24
	v_add_f32_e32 v32, v32, v33
	v_add_f32_e32 v33, v31, v43
	;; [unrolled: 1-line block ×3, first 2 shown]
	v_fmac_f32_e32 v20, 0x3e9e377a, v22
	v_fmac_f32_e32 v51, 0x3e9e377a, v22
	v_fma_f32 v22, -0.5, v0, v2
	v_sub_f32_e32 v0, v40, v41
	v_fmac_f32_e32 v27, 0xbf167918, v26
	v_fmac_f32_e32 v1, 0x3f167918, v26
	v_sub_f32_e32 v29, v29, v28
	v_fmac_f32_e32 v2, -0.5, v33
	v_add_f32_e32 v26, v24, v30
	v_fmamk_f32 v24, v0, 0x3f737871, v22
	v_fmac_f32_e32 v27, 0x3e9e377a, v32
	v_fmac_f32_e32 v1, 0x3e9e377a, v32
	v_sub_f32_e32 v32, v31, v30
	v_sub_f32_e32 v33, v43, v42
	v_fmac_f32_e32 v22, 0xbf737871, v0
	v_fmamk_f32 v28, v29, 0xbf737871, v2
	v_sub_f32_e32 v30, v30, v31
	v_sub_f32_e32 v31, v42, v43
	v_fmac_f32_e32 v2, 0x3f737871, v29
	v_add_f32_e32 v26, v26, v42
	v_fmac_f32_e32 v24, 0x3f167918, v29
	v_add_f32_e32 v32, v32, v33
	v_fmac_f32_e32 v22, 0xbf167918, v29
	v_fmac_f32_e32 v28, 0x3f167918, v0
	v_add_f32_e32 v29, v30, v31
	v_fmac_f32_e32 v2, 0xbf167918, v0
	v_add_nc_u32_e32 v0, 0x800, v100
	ds_write_b64 v100, v[9:10]
	v_add_nc_u32_e32 v9, 0x800, v72
	v_add_f32_e32 v26, v26, v43
	v_fmac_f32_e32 v24, 0x3e9e377a, v32
	v_fmac_f32_e32 v28, 0x3e9e377a, v29
	;; [unrolled: 1-line block ×4, first 2 shown]
	ds_write2_b64 v100, v[5:6], v[11:12] offset0:102 offset1:204
	ds_write2_b64 v0, v[7:8], v[3:4] offset0:50 offset1:152
	v_add_nc_u32_e32 v3, 0x800, v73
	ds_write2_b64 v72, v[15:16], v[19:20] offset0:102 offset1:204
	ds_write2_b64 v9, v[50:51], v[13:14] offset0:50 offset1:152
	;; [unrolled: 1-line block ×5, first 2 shown]
	s_waitcnt lgkmcnt(0)
	s_barrier
	buffer_gl0_inv
	s_and_b32 exec_lo, exec_lo, vcc_lo
	s_cbranch_execz .LBB0_23
; %bb.22:
	global_load_dwordx2 v[1:2], v96, s[12:13]
	ds_read_b64 v[3:4], v100
	s_mov_b32 s0, 0x10101010
	s_mov_b32 s1, 0x3f601010
	v_mad_u64_u32 v[7:8], null, s4, v97, 0
	s_mul_i32 s2, s5, 0xf0
	s_mul_i32 s3, s4, 0xf0
	s_waitcnt vmcnt(0) lgkmcnt(0)
	v_mul_f32_e32 v5, v4, v2
	v_mul_f32_e32 v2, v3, v2
	v_fmac_f32_e32 v5, v3, v1
	v_fma_f32 v3, v1, v4, -v2
	v_cvt_f64_f32_e32 v[1:2], v5
	v_cvt_f64_f32_e32 v[3:4], v3
	v_mad_u64_u32 v[5:6], null, s6, v76, 0
	s_mul_hi_u32 s6, s4, 0xf0
	s_add_i32 s2, s6, s2
	v_mad_u64_u32 v[9:10], null, s7, v76, v[6:7]
	v_mad_u64_u32 v[10:11], null, s5, v97, v[8:9]
	v_mov_b32_e32 v6, v9
	v_mul_f64 v[1:2], v[1:2], s[0:1]
	v_mul_f64 v[3:4], v[3:4], s[0:1]
	v_mov_b32_e32 v8, v10
	v_cvt_f32_f64_e32 v1, v[1:2]
	v_cvt_f32_f64_e32 v2, v[3:4]
	v_lshlrev_b64 v[3:4], 3, v[5:6]
	v_lshlrev_b64 v[5:6], 3, v[7:8]
	v_add_co_u32 v11, vcc_lo, s14, v3
	v_add_co_ci_u32_e32 v12, vcc_lo, s15, v4, vcc_lo
	v_add_co_u32 v5, vcc_lo, v11, v5
	v_add_co_ci_u32_e32 v6, vcc_lo, v12, v6, vcc_lo
	global_store_dwordx2 v[5:6], v[1:2], off
	global_load_dwordx2 v[7:8], v96, s[12:13] offset:240
	ds_read2_b64 v[1:4], v100 offset0:30 offset1:60
	v_add_co_u32 v5, vcc_lo, v5, s3
	v_add_co_ci_u32_e32 v6, vcc_lo, s2, v6, vcc_lo
	s_waitcnt vmcnt(0) lgkmcnt(0)
	v_mul_f32_e32 v9, v2, v8
	v_mul_f32_e32 v8, v1, v8
	v_fmac_f32_e32 v9, v1, v7
	v_fma_f32 v7, v7, v2, -v8
	v_cvt_f64_f32_e32 v[1:2], v9
	v_cvt_f64_f32_e32 v[7:8], v7
	v_mul_f64 v[1:2], v[1:2], s[0:1]
	v_mul_f64 v[7:8], v[7:8], s[0:1]
	v_cvt_f32_f64_e32 v1, v[1:2]
	v_cvt_f32_f64_e32 v2, v[7:8]
	global_store_dwordx2 v[5:6], v[1:2], off
	global_load_dwordx2 v[1:2], v96, s[12:13] offset:480
	v_add_co_u32 v5, vcc_lo, v5, s3
	v_add_co_ci_u32_e32 v6, vcc_lo, s2, v6, vcc_lo
	s_waitcnt vmcnt(0)
	v_mul_f32_e32 v7, v4, v2
	v_mul_f32_e32 v2, v3, v2
	v_fmac_f32_e32 v7, v3, v1
	v_fma_f32 v3, v1, v4, -v2
	v_cvt_f64_f32_e32 v[1:2], v7
	v_cvt_f64_f32_e32 v[3:4], v3
	v_mul_f64 v[1:2], v[1:2], s[0:1]
	v_mul_f64 v[3:4], v[3:4], s[0:1]
	v_cvt_f32_f64_e32 v1, v[1:2]
	v_cvt_f32_f64_e32 v2, v[3:4]
	global_store_dwordx2 v[5:6], v[1:2], off
	global_load_dwordx2 v[7:8], v96, s[12:13] offset:720
	ds_read2_b64 v[1:4], v100 offset0:90 offset1:120
	v_add_co_u32 v5, vcc_lo, v5, s3
	v_add_co_ci_u32_e32 v6, vcc_lo, s2, v6, vcc_lo
	s_waitcnt vmcnt(0) lgkmcnt(0)
	v_mul_f32_e32 v9, v2, v8
	v_mul_f32_e32 v8, v1, v8
	v_fmac_f32_e32 v9, v1, v7
	v_fma_f32 v7, v7, v2, -v8
	v_cvt_f64_f32_e32 v[1:2], v9
	v_cvt_f64_f32_e32 v[7:8], v7
	v_mul_f64 v[1:2], v[1:2], s[0:1]
	v_mul_f64 v[7:8], v[7:8], s[0:1]
	v_cvt_f32_f64_e32 v1, v[1:2]
	v_cvt_f32_f64_e32 v2, v[7:8]
	global_store_dwordx2 v[5:6], v[1:2], off
	global_load_dwordx2 v[1:2], v96, s[12:13] offset:960
	v_add_co_u32 v5, vcc_lo, v5, s3
	v_add_co_ci_u32_e32 v6, vcc_lo, s2, v6, vcc_lo
	s_waitcnt vmcnt(0)
	v_mul_f32_e32 v7, v4, v2
	v_mul_f32_e32 v2, v3, v2
	v_fmac_f32_e32 v7, v3, v1
	v_fma_f32 v3, v1, v4, -v2
	v_cvt_f64_f32_e32 v[1:2], v7
	v_cvt_f64_f32_e32 v[3:4], v3
	v_mul_f64 v[1:2], v[1:2], s[0:1]
	v_mul_f64 v[3:4], v[3:4], s[0:1]
	v_cvt_f32_f64_e32 v1, v[1:2]
	v_cvt_f32_f64_e32 v2, v[3:4]
	global_store_dwordx2 v[5:6], v[1:2], off
	global_load_dwordx2 v[7:8], v96, s[12:13] offset:1200
	ds_read2_b64 v[1:4], v100 offset0:150 offset1:180
	v_add_co_u32 v5, vcc_lo, v5, s3
	v_add_co_ci_u32_e32 v6, vcc_lo, s2, v6, vcc_lo
	s_waitcnt vmcnt(0) lgkmcnt(0)
	v_mul_f32_e32 v9, v2, v8
	v_mul_f32_e32 v8, v1, v8
	v_fmac_f32_e32 v9, v1, v7
	v_fma_f32 v7, v7, v2, -v8
	v_cvt_f64_f32_e32 v[1:2], v9
	v_cvt_f64_f32_e32 v[7:8], v7
	v_mul_f64 v[1:2], v[1:2], s[0:1]
	v_mul_f64 v[7:8], v[7:8], s[0:1]
	v_cvt_f32_f64_e32 v1, v[1:2]
	v_cvt_f32_f64_e32 v2, v[7:8]
	global_store_dwordx2 v[5:6], v[1:2], off
	global_load_dwordx2 v[1:2], v96, s[12:13] offset:1440
	v_add_co_u32 v5, vcc_lo, v5, s3
	v_add_co_ci_u32_e32 v6, vcc_lo, s2, v6, vcc_lo
	s_waitcnt vmcnt(0)
	v_mul_f32_e32 v7, v4, v2
	v_mul_f32_e32 v2, v3, v2
	v_fmac_f32_e32 v7, v3, v1
	v_fma_f32 v3, v1, v4, -v2
	v_cvt_f64_f32_e32 v[1:2], v7
	v_cvt_f64_f32_e32 v[3:4], v3
	v_mul_f64 v[1:2], v[1:2], s[0:1]
	v_mul_f64 v[3:4], v[3:4], s[0:1]
	v_cvt_f32_f64_e32 v1, v[1:2]
	v_cvt_f32_f64_e32 v2, v[3:4]
	global_store_dwordx2 v[5:6], v[1:2], off
	global_load_dwordx2 v[7:8], v96, s[12:13] offset:1680
	ds_read2_b64 v[1:4], v100 offset0:210 offset1:240
	v_add_co_u32 v5, vcc_lo, v5, s3
	v_add_co_ci_u32_e32 v6, vcc_lo, s2, v6, vcc_lo
	s_waitcnt vmcnt(0) lgkmcnt(0)
	v_mul_f32_e32 v9, v2, v8
	v_mul_f32_e32 v8, v1, v8
	v_fmac_f32_e32 v9, v1, v7
	v_fma_f32 v7, v7, v2, -v8
	v_cvt_f64_f32_e32 v[1:2], v9
	v_cvt_f64_f32_e32 v[7:8], v7
	v_mul_f64 v[1:2], v[1:2], s[0:1]
	v_mul_f64 v[7:8], v[7:8], s[0:1]
	v_cvt_f32_f64_e32 v1, v[1:2]
	v_cvt_f32_f64_e32 v2, v[7:8]
	global_store_dwordx2 v[5:6], v[1:2], off
	global_load_dwordx2 v[1:2], v96, s[12:13] offset:1920
	v_add_co_u32 v5, vcc_lo, v5, s3
	v_add_co_ci_u32_e32 v6, vcc_lo, s2, v6, vcc_lo
	s_waitcnt vmcnt(0)
	v_mul_f32_e32 v7, v4, v2
	v_mul_f32_e32 v2, v3, v2
	v_fmac_f32_e32 v7, v3, v1
	v_fma_f32 v3, v1, v4, -v2
	v_cvt_f64_f32_e32 v[1:2], v7
	v_cvt_f64_f32_e32 v[3:4], v3
	v_mul_f64 v[1:2], v[1:2], s[0:1]
	v_mul_f64 v[3:4], v[3:4], s[0:1]
	v_cvt_f32_f64_e32 v1, v[1:2]
	v_cvt_f32_f64_e32 v2, v[3:4]
	v_add_co_u32 v3, s6, s12, v96
	v_add_co_ci_u32_e64 v4, null, s13, 0, s6
	v_add_co_u32 v7, vcc_lo, 0x800, v3
	v_add_co_ci_u32_e32 v8, vcc_lo, 0, v4, vcc_lo
	global_store_dwordx2 v[5:6], v[1:2], off
	global_load_dwordx2 v[9:10], v[7:8], off offset:112
	ds_read2_b64 v[1:4], v0 offset0:14 offset1:44
	v_add_co_u32 v5, vcc_lo, v5, s3
	v_add_co_ci_u32_e32 v6, vcc_lo, s2, v6, vcc_lo
	s_waitcnt vmcnt(0) lgkmcnt(0)
	v_mul_f32_e32 v13, v2, v10
	v_mul_f32_e32 v10, v1, v10
	v_fmac_f32_e32 v13, v1, v9
	v_fma_f32 v9, v9, v2, -v10
	v_cvt_f64_f32_e32 v[1:2], v13
	v_cvt_f64_f32_e32 v[9:10], v9
	v_mul_f64 v[1:2], v[1:2], s[0:1]
	v_mul_f64 v[9:10], v[9:10], s[0:1]
	v_cvt_f32_f64_e32 v1, v[1:2]
	v_cvt_f32_f64_e32 v2, v[9:10]
	global_store_dwordx2 v[5:6], v[1:2], off
	global_load_dwordx2 v[1:2], v[7:8], off offset:352
	v_add_co_u32 v5, vcc_lo, v5, s3
	v_add_co_ci_u32_e32 v6, vcc_lo, s2, v6, vcc_lo
	s_waitcnt vmcnt(0)
	v_mul_f32_e32 v9, v4, v2
	v_mul_f32_e32 v2, v3, v2
	v_fmac_f32_e32 v9, v3, v1
	v_fma_f32 v3, v1, v4, -v2
	v_cvt_f64_f32_e32 v[1:2], v9
	v_cvt_f64_f32_e32 v[3:4], v3
	v_mul_f64 v[1:2], v[1:2], s[0:1]
	v_mul_f64 v[3:4], v[3:4], s[0:1]
	v_cvt_f32_f64_e32 v1, v[1:2]
	v_cvt_f32_f64_e32 v2, v[3:4]
	global_store_dwordx2 v[5:6], v[1:2], off
	global_load_dwordx2 v[9:10], v[7:8], off offset:592
	ds_read2_b64 v[1:4], v0 offset0:74 offset1:104
	v_add_co_u32 v5, vcc_lo, v5, s3
	v_add_co_ci_u32_e32 v6, vcc_lo, s2, v6, vcc_lo
	s_waitcnt vmcnt(0) lgkmcnt(0)
	v_mul_f32_e32 v13, v2, v10
	v_mul_f32_e32 v10, v1, v10
	v_fmac_f32_e32 v13, v1, v9
	v_fma_f32 v9, v9, v2, -v10
	v_cvt_f64_f32_e32 v[1:2], v13
	v_cvt_f64_f32_e32 v[9:10], v9
	v_mul_f64 v[1:2], v[1:2], s[0:1]
	v_mul_f64 v[9:10], v[9:10], s[0:1]
	v_cvt_f32_f64_e32 v1, v[1:2]
	v_cvt_f32_f64_e32 v2, v[9:10]
	global_store_dwordx2 v[5:6], v[1:2], off
	global_load_dwordx2 v[1:2], v[7:8], off offset:832
	v_add_co_u32 v5, vcc_lo, v5, s3
	v_add_co_ci_u32_e32 v6, vcc_lo, s2, v6, vcc_lo
	s_waitcnt vmcnt(0)
	v_mul_f32_e32 v9, v4, v2
	v_mul_f32_e32 v2, v3, v2
	v_fmac_f32_e32 v9, v3, v1
	v_fma_f32 v3, v1, v4, -v2
	v_cvt_f64_f32_e32 v[1:2], v9
	v_cvt_f64_f32_e32 v[3:4], v3
	v_mul_f64 v[1:2], v[1:2], s[0:1]
	v_mul_f64 v[3:4], v[3:4], s[0:1]
	v_cvt_f32_f64_e32 v1, v[1:2]
	v_cvt_f32_f64_e32 v2, v[3:4]
	global_store_dwordx2 v[5:6], v[1:2], off
	global_load_dwordx2 v[9:10], v[7:8], off offset:1072
	ds_read2_b64 v[1:4], v0 offset0:134 offset1:164
	v_add_co_u32 v5, vcc_lo, v5, s3
	v_add_co_ci_u32_e32 v6, vcc_lo, s2, v6, vcc_lo
	s_waitcnt vmcnt(0) lgkmcnt(0)
	v_mul_f32_e32 v13, v2, v10
	v_mul_f32_e32 v10, v1, v10
	v_fmac_f32_e32 v13, v1, v9
	v_fma_f32 v9, v9, v2, -v10
	v_cvt_f64_f32_e32 v[1:2], v13
	v_cvt_f64_f32_e32 v[9:10], v9
	v_mul_f64 v[1:2], v[1:2], s[0:1]
	v_mul_f64 v[9:10], v[9:10], s[0:1]
	v_cvt_f32_f64_e32 v1, v[1:2]
	v_cvt_f32_f64_e32 v2, v[9:10]
	global_store_dwordx2 v[5:6], v[1:2], off
	global_load_dwordx2 v[1:2], v[7:8], off offset:1312
	s_waitcnt vmcnt(0)
	v_mul_f32_e32 v9, v4, v2
	v_mul_f32_e32 v2, v3, v2
	v_fmac_f32_e32 v9, v3, v1
	v_fma_f32 v3, v1, v4, -v2
	v_cvt_f64_f32_e32 v[1:2], v9
	v_cvt_f64_f32_e32 v[3:4], v3
	v_mul_f64 v[1:2], v[1:2], s[0:1]
	v_mul_f64 v[3:4], v[3:4], s[0:1]
	v_cvt_f32_f64_e32 v1, v[1:2]
	v_cvt_f32_f64_e32 v2, v[3:4]
	v_add_co_u32 v4, vcc_lo, v5, s3
	v_add_co_ci_u32_e32 v5, vcc_lo, s2, v6, vcc_lo
	global_store_dwordx2 v[4:5], v[1:2], off
	global_load_dwordx2 v[6:7], v[7:8], off offset:1552
	ds_read2_b64 v[0:3], v0 offset0:194 offset1:224
	v_add_co_u32 v4, vcc_lo, v4, s3
	v_add_co_ci_u32_e32 v5, vcc_lo, s2, v5, vcc_lo
	s_waitcnt vmcnt(0) lgkmcnt(0)
	v_mul_f32_e32 v8, v1, v7
	v_mul_f32_e32 v7, v0, v7
	v_fmac_f32_e32 v8, v0, v6
	v_fma_f32 v6, v6, v1, -v7
	v_cvt_f64_f32_e32 v[0:1], v8
	v_cvt_f64_f32_e32 v[6:7], v6
	v_mul_f64 v[0:1], v[0:1], s[0:1]
	v_mul_f64 v[6:7], v[6:7], s[0:1]
	v_cvt_f32_f64_e32 v0, v[0:1]
	v_cvt_f32_f64_e32 v1, v[6:7]
	v_lshlrev_b32_e32 v6, 3, v95
	global_store_dwordx2 v[4:5], v[0:1], off
	global_load_dwordx2 v[0:1], v6, s[12:13]
	s_waitcnt vmcnt(0)
	v_mul_f32_e32 v4, v3, v1
	v_mul_f32_e32 v1, v2, v1
	v_fmac_f32_e32 v4, v2, v0
	v_fma_f32 v2, v0, v3, -v1
	v_cvt_f64_f32_e32 v[0:1], v4
	v_cvt_f64_f32_e32 v[2:3], v2
	v_mad_u64_u32 v[4:5], null, s4, v95, 0
	v_mad_u64_u32 v[5:6], null, s5, v95, v[5:6]
	v_mul_f64 v[0:1], v[0:1], s[0:1]
	v_mul_f64 v[2:3], v[2:3], s[0:1]
	v_cvt_f32_f64_e32 v0, v[0:1]
	v_cvt_f32_f64_e32 v1, v[2:3]
	v_lshlrev_b64 v[2:3], 3, v[4:5]
	v_add_co_u32 v2, vcc_lo, v11, v2
	v_add_co_ci_u32_e32 v3, vcc_lo, v12, v3, vcc_lo
	global_store_dwordx2 v[2:3], v[0:1], off
.LBB0_23:
	s_endpgm
	.section	.rodata,"a",@progbits
	.p2align	6, 0x0
	.amdhsa_kernel bluestein_single_back_len510_dim1_sp_op_CI_CI
		.amdhsa_group_segment_fixed_size 28560
		.amdhsa_private_segment_fixed_size 0
		.amdhsa_kernarg_size 104
		.amdhsa_user_sgpr_count 6
		.amdhsa_user_sgpr_private_segment_buffer 1
		.amdhsa_user_sgpr_dispatch_ptr 0
		.amdhsa_user_sgpr_queue_ptr 0
		.amdhsa_user_sgpr_kernarg_segment_ptr 1
		.amdhsa_user_sgpr_dispatch_id 0
		.amdhsa_user_sgpr_flat_scratch_init 0
		.amdhsa_user_sgpr_private_segment_size 0
		.amdhsa_wavefront_size32 1
		.amdhsa_uses_dynamic_stack 0
		.amdhsa_system_sgpr_private_segment_wavefront_offset 0
		.amdhsa_system_sgpr_workgroup_id_x 1
		.amdhsa_system_sgpr_workgroup_id_y 0
		.amdhsa_system_sgpr_workgroup_id_z 0
		.amdhsa_system_sgpr_workgroup_info 0
		.amdhsa_system_vgpr_workitem_id 0
		.amdhsa_next_free_vgpr 218
		.amdhsa_next_free_sgpr 16
		.amdhsa_reserve_vcc 1
		.amdhsa_reserve_flat_scratch 0
		.amdhsa_float_round_mode_32 0
		.amdhsa_float_round_mode_16_64 0
		.amdhsa_float_denorm_mode_32 3
		.amdhsa_float_denorm_mode_16_64 3
		.amdhsa_dx10_clamp 1
		.amdhsa_ieee_mode 1
		.amdhsa_fp16_overflow 0
		.amdhsa_workgroup_processor_mode 1
		.amdhsa_memory_ordered 1
		.amdhsa_forward_progress 0
		.amdhsa_shared_vgpr_count 0
		.amdhsa_exception_fp_ieee_invalid_op 0
		.amdhsa_exception_fp_denorm_src 0
		.amdhsa_exception_fp_ieee_div_zero 0
		.amdhsa_exception_fp_ieee_overflow 0
		.amdhsa_exception_fp_ieee_underflow 0
		.amdhsa_exception_fp_ieee_inexact 0
		.amdhsa_exception_int_div_zero 0
	.end_amdhsa_kernel
	.text
.Lfunc_end0:
	.size	bluestein_single_back_len510_dim1_sp_op_CI_CI, .Lfunc_end0-bluestein_single_back_len510_dim1_sp_op_CI_CI
                                        ; -- End function
	.section	.AMDGPU.csdata,"",@progbits
; Kernel info:
; codeLenInByte = 20780
; NumSgprs: 18
; NumVgprs: 218
; ScratchSize: 0
; MemoryBound: 0
; FloatMode: 240
; IeeeMode: 1
; LDSByteSize: 28560 bytes/workgroup (compile time only)
; SGPRBlocks: 2
; VGPRBlocks: 27
; NumSGPRsForWavesPerEU: 18
; NumVGPRsForWavesPerEU: 218
; Occupancy: 4
; WaveLimiterHint : 1
; COMPUTE_PGM_RSRC2:SCRATCH_EN: 0
; COMPUTE_PGM_RSRC2:USER_SGPR: 6
; COMPUTE_PGM_RSRC2:TRAP_HANDLER: 0
; COMPUTE_PGM_RSRC2:TGID_X_EN: 1
; COMPUTE_PGM_RSRC2:TGID_Y_EN: 0
; COMPUTE_PGM_RSRC2:TGID_Z_EN: 0
; COMPUTE_PGM_RSRC2:TIDIG_COMP_CNT: 0
	.text
	.p2alignl 6, 3214868480
	.fill 48, 4, 3214868480
	.type	__hip_cuid_2bf03cfd490f5318,@object ; @__hip_cuid_2bf03cfd490f5318
	.section	.bss,"aw",@nobits
	.globl	__hip_cuid_2bf03cfd490f5318
__hip_cuid_2bf03cfd490f5318:
	.byte	0                               ; 0x0
	.size	__hip_cuid_2bf03cfd490f5318, 1

	.ident	"AMD clang version 19.0.0git (https://github.com/RadeonOpenCompute/llvm-project roc-6.4.0 25133 c7fe45cf4b819c5991fe208aaa96edf142730f1d)"
	.section	".note.GNU-stack","",@progbits
	.addrsig
	.addrsig_sym __hip_cuid_2bf03cfd490f5318
	.amdgpu_metadata
---
amdhsa.kernels:
  - .args:
      - .actual_access:  read_only
        .address_space:  global
        .offset:         0
        .size:           8
        .value_kind:     global_buffer
      - .actual_access:  read_only
        .address_space:  global
        .offset:         8
        .size:           8
        .value_kind:     global_buffer
      - .actual_access:  read_only
        .address_space:  global
        .offset:         16
        .size:           8
        .value_kind:     global_buffer
      - .actual_access:  read_only
        .address_space:  global
        .offset:         24
        .size:           8
        .value_kind:     global_buffer
      - .actual_access:  read_only
        .address_space:  global
        .offset:         32
        .size:           8
        .value_kind:     global_buffer
      - .offset:         40
        .size:           8
        .value_kind:     by_value
      - .address_space:  global
        .offset:         48
        .size:           8
        .value_kind:     global_buffer
      - .address_space:  global
        .offset:         56
        .size:           8
        .value_kind:     global_buffer
      - .address_space:  global
        .offset:         64
        .size:           8
        .value_kind:     global_buffer
      - .address_space:  global
        .offset:         72
        .size:           8
        .value_kind:     global_buffer
      - .offset:         80
        .size:           4
        .value_kind:     by_value
      - .address_space:  global
        .offset:         88
        .size:           8
        .value_kind:     global_buffer
      - .address_space:  global
        .offset:         96
        .size:           8
        .value_kind:     global_buffer
    .group_segment_fixed_size: 28560
    .kernarg_segment_align: 8
    .kernarg_segment_size: 104
    .language:       OpenCL C
    .language_version:
      - 2
      - 0
    .max_flat_workgroup_size: 238
    .name:           bluestein_single_back_len510_dim1_sp_op_CI_CI
    .private_segment_fixed_size: 0
    .sgpr_count:     18
    .sgpr_spill_count: 0
    .symbol:         bluestein_single_back_len510_dim1_sp_op_CI_CI.kd
    .uniform_work_group_size: 1
    .uses_dynamic_stack: false
    .vgpr_count:     218
    .vgpr_spill_count: 0
    .wavefront_size: 32
    .workgroup_processor_mode: 1
amdhsa.target:   amdgcn-amd-amdhsa--gfx1030
amdhsa.version:
  - 1
  - 2
...

	.end_amdgpu_metadata
